;; amdgpu-corpus repo=ROCm/rocFFT kind=compiled arch=gfx1201 opt=O3
	.text
	.amdgcn_target "amdgcn-amd-amdhsa--gfx1201"
	.amdhsa_code_object_version 6
	.protected	bluestein_single_back_len11_dim1_half_op_CI_CI ; -- Begin function bluestein_single_back_len11_dim1_half_op_CI_CI
	.globl	bluestein_single_back_len11_dim1_half_op_CI_CI
	.p2align	8
	.type	bluestein_single_back_len11_dim1_half_op_CI_CI,@function
bluestein_single_back_len11_dim1_half_op_CI_CI: ; @bluestein_single_back_len11_dim1_half_op_CI_CI
; %bb.0:
	s_load_b128 s[12:15], s[0:1], 0x28
	v_lshl_or_b32 v13, ttmp9, 7, v0
	v_mov_b32_e32 v14, 0
	s_mov_b32 s2, exec_lo
	s_wait_kmcnt 0x0
	s_delay_alu instid0(VALU_DEP_1)
	v_cmpx_gt_u64_e64 s[12:13], v[13:14]
	s_cbranch_execz .LBB0_2
; %bb.1:
	s_clause 0x2
	s_load_b128 s[4:7], s[0:1], 0x18
	s_load_b64 s[2:3], s[0:1], 0x0
	s_load_b64 s[0:1], s[0:1], 0x38
	s_wait_kmcnt 0x0
	s_load_b128 s[8:11], s[4:5], 0x0
	s_clause 0x1
	global_load_b128 v[9:12], v14, s[2:3]
	global_load_b128 v[5:8], v14, s[2:3] offset:16
	s_wait_kmcnt 0x0
	v_mad_co_u64_u32 v[1:2], null, s10, v13, 0
	s_lshl_b64 s[4:5], s[8:9], 2
	s_lshl_b64 s[12:13], s[8:9], 4
	s_delay_alu instid0(VALU_DEP_1) | instskip(SKIP_1) | instid1(VALU_DEP_1)
	v_mad_co_u64_u32 v[2:3], null, s11, v13, v[2:3]
	s_lshl_b64 s[10:11], s[8:9], 3
	v_lshlrev_b64_e32 v[15:16], 2, v[1:2]
	global_load_b128 v[1:4], v14, s[2:3] offset:32
	v_add_co_u32 v15, vcc_lo, s14, v15
	v_add_co_ci_u32_e32 v16, vcc_lo, s15, v16, vcc_lo
	s_lshl_b64 s[14:15], s[8:9], 5
	s_delay_alu instid0(VALU_DEP_2) | instskip(SKIP_1) | instid1(VALU_DEP_2)
	v_add_co_u32 v17, vcc_lo, v15, s4
	s_wait_alu 0xfffd
	v_add_co_ci_u32_e32 v18, vcc_lo, s5, v16, vcc_lo
	s_wait_alu 0xfffe
	v_add_co_u32 v19, vcc_lo, v15, s10
	v_mad_co_u64_u32 v[21:22], null, s8, 12, v[15:16]
	v_mad_co_u64_u32 v[25:26], null, s8, 20, v[15:16]
	s_wait_alu 0xfffd
	v_add_co_ci_u32_e32 v20, vcc_lo, s11, v16, vcc_lo
	v_add_co_u32 v23, vcc_lo, v15, s12
	s_wait_alu 0xfffd
	v_add_co_ci_u32_e32 v24, vcc_lo, s13, v16, vcc_lo
	v_add_co_u32 v31, vcc_lo, v15, s14
	v_mad_co_u64_u32 v[27:28], null, s8, 24, v[15:16]
	v_mad_co_u64_u32 v[29:30], null, s8, 28, v[15:16]
	s_wait_alu 0xfffd
	v_add_co_ci_u32_e32 v32, vcc_lo, s15, v16, vcc_lo
	v_mad_co_u64_u32 v[33:34], null, s8, 36, v[15:16]
	v_mad_co_u64_u32 v[35:36], null, s8, 40, v[15:16]
	global_load_b32 v37, v[15:16], off
	v_dual_mov_b32 v15, v22 :: v_dual_mov_b32 v16, v26
	s_clause 0x3
	global_load_b32 v38, v[17:18], off
	global_load_b32 v39, v[19:20], off
	global_load_b32 v40, v[23:24], off
	global_load_b32 v41, v[31:32], off
	v_mov_b32_e32 v17, v28
	s_mov_b32 s12, 0x745d1746
	v_mov_b32_e32 v20, v36
	v_mad_co_u64_u32 v[18:19], null, s9, 12, v[15:16]
	s_delay_alu instid0(VALU_DEP_3) | instskip(SKIP_3) | instid1(VALU_DEP_4)
	v_mad_co_u64_u32 v[23:24], null, s9, 20, v[16:17]
	v_mov_b32_e32 v15, v30
	v_mov_b32_e32 v19, v34
	s_mov_b32 s13, 0x3fb745d1
	v_mad_co_u64_u32 v[16:17], null, s9, 24, v[17:18]
	s_delay_alu instid0(VALU_DEP_4) | instskip(SKIP_1) | instid1(VALU_DEP_3)
	v_mov_b32_e32 v26, v23
	v_mov_b32_e32 v22, v18
	v_mad_co_u64_u32 v[17:18], null, s9, 28, v[15:16]
	v_mad_co_u64_u32 v[18:19], null, s9, 36, v[19:20]
	;; [unrolled: 1-line block ×3, first 2 shown]
	v_mov_b32_e32 v28, v16
	s_clause 0x1
	global_load_b32 v15, v[21:22], off
	global_load_b32 v16, v[25:26], off
	v_mov_b32_e32 v30, v17
	v_mov_b32_e32 v34, v18
	v_mul_u32_u24_e32 v26, 44, v0
	s_wait_loadcnt 0x9
	v_lshrrev_b32_e32 v32, 16, v11
	v_dual_mov_b32 v36, v19 :: v_dual_and_b32 v21, 0xffff, v9
	s_wait_loadcnt 0x8
	v_and_b32_e32 v23, 0xffff, v5
	s_clause 0x1
	global_load_b32 v17, v[27:28], off
	global_load_b32 v18, v[29:30], off
	v_and_b32_e32 v43, 0xffff, v32
	s_clause 0x1
	global_load_b32 v19, v[33:34], off
	global_load_b32 v20, v[35:36], off
	v_lshrrev_b32_e32 v34, 16, v9
	v_lshrrev_b32_e32 v33, 16, v10
	v_lshl_or_b32 v21, v10, 16, v21
	v_lshrrev_b32_e32 v30, 16, v5
	v_lshrrev_b32_e32 v28, 16, v7
	v_and_b32_e32 v42, 0xffff, v34
	v_lshrrev_b32_e32 v31, 16, v12
	v_and_b32_e32 v22, 0xffff, v11
	;; [unrolled: 2-line block ×3, first 2 shown]
	v_lshl_or_b32 v42, v33, 16, v42
	v_lshrrev_b32_e32 v27, 16, v8
	v_and_b32_e32 v35, 0xffff, v7
	v_and_b32_e32 v45, 0xffff, v28
	v_lshl_or_b32 v22, v12, 16, v22
	v_lshl_or_b32 v43, v31, 16, v43
	;; [unrolled: 1-line block ×6, first 2 shown]
	s_load_b128 s[8:11], s[6:7], 0x0
	s_wait_loadcnt 0xb
	v_lshrrev_b32_e32 v0, 16, v1
	v_lshrrev_b32_e32 v25, 16, v2
	v_and_b32_e32 v36, 0xffff, v1
	v_lshrrev_b32_e32 v24, 16, v3
	s_delay_alu instid0(VALU_DEP_4) | instskip(NEXT) | instid1(VALU_DEP_3)
	v_and_b32_e32 v46, 0xffff, v0
	v_lshl_or_b32 v36, v2, 16, v36
	s_delay_alu instid0(VALU_DEP_2)
	v_lshl_or_b32 v46, v25, 16, v46
	s_wait_loadcnt 0xa
	v_lshrrev_b32_e32 v47, 16, v37
	s_wait_loadcnt 0x9
	v_bfi_b32 v49, 0xffff, v37, v38
	v_alignbit_b32 v50, v38, v37, 16
	v_lshrrev_b32_e32 v48, 16, v38
	v_mul_f16_e32 v38, v33, v38
	v_mul_f16_e32 v47, v34, v47
	s_wait_loadcnt 0x8
	v_lshrrev_b32_e32 v51, 16, v39
	v_pk_mul_f16 v42, v42, v49
	v_pk_mul_f16 v49, v21, v50
	s_wait_loadcnt 0x7
	v_lshrrev_b32_e32 v52, 16, v40
	s_wait_loadcnt 0x6
	v_lshrrev_b32_e32 v53, 16, v41
	v_fmac_f16_e32 v47, v9, v37
	v_fma_f16 v37, v10, v48, -v38
	v_mul_f16_e32 v38, v32, v51
	v_pk_fma_f16 v21, v21, v50, v42
	v_sub_f16_e32 v42, v49, v42
	v_mul_f16_e32 v48, v30, v52
	v_mul_f16_e32 v51, v0, v53
	v_fmac_f16_e32 v38, v11, v39
	v_alignbit_b32 v21, v37, v21, 16
	v_pack_b32_f16 v37, v47, v42
	v_fmac_f16_e32 v48, v5, v40
	v_fmac_f16_e32 v51, v1, v41
	s_wait_loadcnt 0x5
	v_bfi_b32 v47, 0xffff, v39, v15
	v_alignbit_b32 v39, v15, v39, 16
	v_lshrrev_b32_e32 v42, 16, v15
	v_mul_f16_e32 v15, v31, v15
	s_wait_loadcnt 0x4
	v_bfi_b32 v50, 0xffff, v40, v16
	v_alignbit_b32 v40, v16, v40, 16
	v_lshrrev_b32_e32 v49, 16, v16
	v_mul_f16_e32 v16, v29, v16
	v_pk_mul_f16 v60, v22, v39
	v_pk_mul_f16 v43, v43, v47
	v_fma_f16 v15, v12, v42, -v15
	v_pk_mul_f16 v42, v23, v40
	v_pk_mul_f16 v44, v44, v50
	v_fma_f16 v16, v6, v49, -v16
	v_pk_fma_f16 v22, v22, v39, v43
	v_sub_f16_e32 v39, v60, v43
	s_delay_alu instid0(VALU_DEP_4) | instskip(SKIP_1) | instid1(VALU_DEP_4)
	v_pk_fma_f16 v23, v23, v40, v44
	v_sub_f16_e32 v40, v42, v44
	v_alignbit_b32 v15, v15, v22, 16
	s_delay_alu instid0(VALU_DEP_3) | instskip(NEXT) | instid1(VALU_DEP_3)
	v_alignbit_b32 v16, v16, v23, 16
	v_pack_b32_f16 v22, v48, v40
	s_wait_loadcnt 0x3
	v_lshrrev_b32_e32 v52, 16, v17
	s_wait_loadcnt 0x2
	v_bfi_b32 v54, 0xffff, v17, v18
	v_alignbit_b32 v55, v18, v17, 16
	s_wait_loadcnt 0x1
	v_bfi_b32 v57, 0xffff, v41, v19
	v_alignbit_b32 v41, v19, v41, 16
	s_wait_loadcnt 0x0
	v_lshrrev_b32_e32 v58, 16, v20
	v_lshrrev_b32_e32 v53, 16, v18
	v_mul_f16_e32 v18, v27, v18
	v_mul_f16_e32 v47, v28, v52
	v_pk_mul_f16 v49, v35, v55
	v_pk_mul_f16 v45, v45, v54
	v_lshrrev_b32_e32 v56, 16, v19
	v_mul_f16_e32 v19, v25, v19
	v_pk_mul_f16 v50, v36, v41
	v_pk_mul_f16 v46, v46, v57
	v_mul_f16_e32 v59, v24, v20
	v_mul_f16_e32 v52, v24, v58
	v_fma_f16 v18, v8, v53, -v18
	v_fmac_f16_e32 v47, v7, v17
	v_pk_fma_f16 v17, v35, v55, v45
	v_sub_f16_e32 v35, v49, v45
	v_fma_f16 v19, v2, v56, -v19
	v_pk_fma_f16 v36, v36, v41, v46
	v_sub_f16_e32 v41, v50, v46
	v_fma_f16 v53, v3, v58, -v59
	v_fmac_f16_e32 v52, v3, v20
	v_pack_b32_f16 v20, v38, v39
	v_alignbit_b32 v17, v18, v17, 16
	v_pack_b32_f16 v18, v47, v35
	v_alignbit_b32 v19, v19, v36, 16
	v_pack_b32_f16 v23, v51, v41
	v_pack_b32_f16 v35, v52, v53
	ds_store_2addr_b32 v26, v37, v21 offset1:1
	ds_store_2addr_b32 v26, v20, v15 offset0:2 offset1:3
	ds_store_2addr_b32 v26, v22, v16 offset0:4 offset1:5
	;; [unrolled: 1-line block ×4, first 2 shown]
	ds_store_b32 v26, v35 offset:40
	global_wb scope:SCOPE_SE
	s_wait_dscnt 0x0
	s_wait_kmcnt 0x0
	s_barrier_signal -1
	s_barrier_wait -1
	global_inv scope:SCOPE_SE
	ds_load_2addr_b32 v[49:50], v26 offset0:1 offset1:2
	ds_load_2addr_b32 v[21:22], v26 offset0:3 offset1:4
	;; [unrolled: 1-line block ×5, first 2 shown]
	ds_load_b32 v39, v26
	s_wait_dscnt 0x5
	v_lshrrev_b32_e32 v51, 16, v49
	v_lshrrev_b32_e32 v46, 16, v50
	s_wait_dscnt 0x4
	v_lshrrev_b32_e32 v42, 16, v21
	s_wait_dscnt 0x2
	;; [unrolled: 2-line block ×4, first 2 shown]
	v_lshrrev_b32_e32 v41, 16, v39
	v_add_f16_e32 v43, v16, v49
	v_sub_f16_e32 v52, v49, v16
	v_add_f16_e32 v49, v49, v39
	v_lshrrev_b32_e32 v35, 16, v15
	v_add_f16_e32 v58, v23, v51
	v_sub_f16_e32 v59, v51, v23
	v_add_f16_e32 v51, v51, v41
	v_add_f16_e32 v49, v49, v50
	;; [unrolled: 1-line block ×3, first 2 shown]
	v_sub_f16_e32 v53, v50, v15
	v_add_f16_e32 v45, v18, v21
	v_sub_f16_e32 v54, v21, v18
	v_add_f16_e32 v64, v35, v46
	;; [unrolled: 2-line block ×3, first 2 shown]
	v_add_f16_e32 v21, v49, v21
	v_lshrrev_b32_e32 v40, 16, v22
	v_lshrrev_b32_e32 v38, 16, v19
	;; [unrolled: 1-line block ×3, first 2 shown]
	v_sub_f16_e32 v55, v22, v17
	v_sub_f16_e32 v56, v19, v20
	v_lshrrev_b32_e32 v57, 16, v17
	v_mul_f16_e32 v60, 0xb853, v52
	v_mul_f16_e32 v61, 0xbb47, v52
	v_mul_f16_e32 v62, 0xbbeb, v52
	v_mul_f16_e32 v63, 0xba0c, v52
	v_mul_f16_e32 v66, 0xbb47, v53
	v_mul_f16_e32 v67, 0xba0c, v53
	v_mul_f16_e32 v68, 0x3482, v53
	v_mul_f16_e32 v69, 0x3beb, v53
	v_add_f16_e32 v70, v36, v42
	v_mul_f16_e32 v71, 0xbbeb, v54
	v_mul_f16_e32 v72, 0x3482, v54
	;; [unrolled: 1-line block ×4, first 2 shown]
	v_pack_b32_f16 v50, v52, v43
	v_pack_b32_f16 v52, v53, v44
	;; [unrolled: 1-line block ×3, first 2 shown]
	v_sub_f16_e32 v54, v42, v36
	v_add_f16_e32 v21, v21, v22
	v_add_f16_e32 v42, v46, v42
	v_add_f16_e32 v47, v17, v22
	v_add_f16_e32 v48, v20, v19
	v_mul_f16_e32 v75, 0xba0c, v55
	v_mul_f16_e32 v76, 0x3beb, v55
	;; [unrolled: 1-line block ×4, first 2 shown]
	v_add_f16_e32 v79, v57, v40
	v_sub_f16_e32 v80, v40, v57
	v_mul_f16_e32 v81, 0xb482, v56
	v_mul_f16_e32 v82, 0x3853, v56
	;; [unrolled: 1-line block ×4, first 2 shown]
	v_add_f16_e32 v85, v37, v38
	v_sub_f16_e32 v86, v38, v37
	v_add_f16_e32 v19, v21, v19
	v_add_f16_e32 v21, v42, v40
	v_pack_b32_f16 v55, v55, v47
	v_pack_b32_f16 v56, v56, v48
	v_mul_f16_e32 v87, 0xb853, v59
	v_mul_f16_e32 v89, 0xbb47, v59
	;; [unrolled: 1-line block ×4, first 2 shown]
	v_fmamk_f16 v88, v58, 0x3abb, v60
	v_fma_f16 v60, v58, 0x3abb, -v60
	v_fmamk_f16 v90, v58, 0x36a6, v61
	v_fma_f16 v61, v58, 0x36a6, -v61
	v_fmamk_f16 v92, v58, 0xb08e, v62
	v_fma_f16 v62, v58, 0xb08e, -v62
	v_fmamk_f16 v94, v58, 0xb93d, v63
	v_fma_f16 v63, v58, 0xb93d, -v63
	v_mul_f16_e32 v95, 0xbb47, v65
	v_fmamk_f16 v96, v64, 0x36a6, v66
	v_fma_f16 v66, v64, 0x36a6, -v66
	v_mul_f16_e32 v97, 0xba0c, v65
	v_fmamk_f16 v98, v64, 0xb93d, v67
	v_fma_f16 v67, v64, 0xb93d, -v67
	;; [unrolled: 3-line block ×4, first 2 shown]
	v_fmamk_f16 v103, v70, 0xb08e, v71
	v_fma_f16 v71, v70, 0xb08e, -v71
	v_fmamk_f16 v104, v70, 0xbbad, v72
	v_fma_f16 v72, v70, 0xbbad, -v72
	;; [unrolled: 2-line block ×3, first 2 shown]
	v_pack_b32_f16 v49, v58, v59
	v_pack_b32_f16 v51, v64, v65
	v_fmamk_f16 v58, v70, 0x3abb, v74
	v_fma_f16 v59, v70, 0x3abb, -v74
	v_pack_b32_f16 v64, v70, v54
	v_mul_f16_e32 v65, 0xbbeb, v54
	v_mul_f16_e32 v70, 0x3482, v54
	;; [unrolled: 1-line block ×4, first 2 shown]
	v_fmamk_f16 v106, v79, 0xb93d, v75
	v_fma_f16 v75, v79, 0xb93d, -v75
	v_fmamk_f16 v107, v79, 0xb08e, v76
	v_fma_f16 v76, v79, 0xb08e, -v76
	;; [unrolled: 2-line block ×4, first 2 shown]
	v_pack_b32_f16 v79, v79, v80
	v_mul_f16_e32 v110, 0xba0c, v80
	v_mul_f16_e32 v111, 0x3beb, v80
	;; [unrolled: 1-line block ×4, first 2 shown]
	v_fmamk_f16 v113, v85, 0xbbad, v81
	v_fma_f16 v81, v85, 0xbbad, -v81
	v_fmamk_f16 v114, v85, 0x3abb, v82
	v_fma_f16 v82, v85, 0x3abb, -v82
	;; [unrolled: 2-line block ×4, first 2 shown]
	v_pack_b32_f16 v85, v85, v86
	v_mul_f16_e32 v117, 0xb482, v86
	v_mul_f16_e32 v118, 0x3853, v86
	v_mul_f16_e32 v119, 0xba0c, v86
	v_mul_f16_e32 v86, 0x3b47, v86
	v_pk_mul_f16 v50, 0xbbadb482, v50
	v_add_f16_e32 v19, v19, v20
	v_add_f16_e32 v20, v21, v38
	v_pk_mul_f16 v52, 0x3abb3853, v52
	v_pk_mul_f16 v53, 0xb93dba0c, v53
	;; [unrolled: 1-line block ×4, first 2 shown]
	v_fma_f16 v120, v43, 0x3abb, -v87
	v_fmac_f16_e32 v87, 0x3abb, v43
	v_fma_f16 v121, v43, 0x36a6, -v89
	v_fmac_f16_e32 v89, 0x36a6, v43
	v_fma_f16 v22, v43, 0xb08e, -v91
	v_fmac_f16_e32 v91, 0xb08e, v43
	v_fma_f16 v122, v43, 0xb93d, -v93
	v_fmac_f16_e32 v93, 0xb93d, v43
	v_fma_f16 v43, v44, 0x36a6, -v95
	v_fmac_f16_e32 v95, 0x36a6, v44
	v_fma_f16 v123, v44, 0xb93d, -v97
	v_fmac_f16_e32 v97, 0xb93d, v44
	v_fma_f16 v124, v44, 0xbbad, -v99
	v_fmac_f16_e32 v99, 0xbbad, v44
	v_fma_f16 v125, v44, 0xb08e, -v101
	v_fmac_f16_e32 v101, 0xb08e, v44
	v_fma_f16 v44, v45, 0xb08e, -v65
	v_fmac_f16_e32 v65, 0xb08e, v45
	v_fma_f16 v126, v45, 0xbbad, -v70
	v_fmac_f16_e32 v70, 0xbbad, v45
	v_fma_f16 v127, v45, 0x36a6, -v74
	v_fmac_f16_e32 v74, 0x36a6, v45
	v_fma_f16 v128, v45, 0x3abb, -v54
	v_fmac_f16_e32 v54, 0x3abb, v45
	v_fma_f16 v45, v47, 0xb93d, -v110
	v_fmac_f16_e32 v110, 0xb93d, v47
	v_fma_f16 v129, v47, 0xb08e, -v111
	v_fmac_f16_e32 v111, 0xb08e, v47
	v_fma_f16 v130, v47, 0x3abb, -v112
	v_fmac_f16_e32 v112, 0x3abb, v47
	v_fma_f16 v131, v47, 0xbbad, -v80
	v_fmac_f16_e32 v80, 0xbbad, v47
	v_fma_f16 v47, v48, 0xbbad, -v117
	v_fmac_f16_e32 v117, 0xbbad, v48
	v_fma_f16 v132, v48, 0x3abb, -v118
	v_fmac_f16_e32 v118, 0x3abb, v48
	v_fma_f16 v133, v48, 0xb93d, -v119
	v_fmac_f16_e32 v119, 0xb93d, v48
	v_fma_f16 v134, v48, 0x36a6, -v86
	v_fmac_f16_e32 v86, 0x36a6, v48
	v_add_f16_e32 v46, v88, v41
	v_add_f16_e32 v48, v60, v41
	;; [unrolled: 1-line block ×8, first 2 shown]
	v_pk_fma_f16 v63, 0xb482bbad, v49, v50 neg_lo:[0,1,0] neg_hi:[0,1,0]
	v_pk_fma_f16 v92, 0xb482bbad, v49, v50
	v_pk_fma_f16 v49, 0xb482bbad, v49, v50 neg_lo:[0,0,1] neg_hi:[0,0,1]
	v_add_f16_e32 v20, v20, v37
	v_pk_fma_f16 v50, 0x38533abb, v51, v52 neg_lo:[0,1,0] neg_hi:[0,1,0]
	v_pk_fma_f16 v94, 0x38533abb, v51, v52
	v_pk_fma_f16 v51, 0x38533abb, v51, v52 neg_lo:[0,0,1] neg_hi:[0,0,1]
	v_pk_fma_f16 v52, 0xba0cb93d, v64, v53 neg_lo:[0,1,0] neg_hi:[0,1,0]
	v_pk_fma_f16 v135, 0xba0cb93d, v64, v53
	v_pk_fma_f16 v53, 0xba0cb93d, v64, v53 neg_lo:[0,0,1] neg_hi:[0,0,1]
	;; [unrolled: 3-line block ×4, first 2 shown]
	v_add_f16_e32 v40, v120, v39
	v_add_f16_e32 v42, v87, v39
	;; [unrolled: 1-line block ×8, first 2 shown]
	v_pk_add_f16 v63, v63, v39 op_sel:[0,1] op_sel_hi:[1,0]
	v_pk_add_f16 v92, v92, v39 op_sel:[0,1] op_sel_hi:[1,0]
	;; [unrolled: 1-line block ×3, first 2 shown]
	v_add_f16_e32 v17, v19, v17
	v_add_f16_e32 v20, v20, v57
	;; [unrolled: 1-line block ×17, first 2 shown]
	v_pk_add_f16 v50, v50, v63
	v_pk_add_f16 v63, v94, v92
	v_pk_add_f16 v39, v51, v39
	v_add_f16_e32 v46, v96, v46
	v_add_f16_e32 v17, v17, v18
	;; [unrolled: 1-line block ×14, first 2 shown]
	v_add_f16_e64 v43, v128, v67
	v_add_f16_e32 v44, v54, v68
	v_add_f16_e32 v58, v58, v66
	;; [unrolled: 1-line block ×3, first 2 shown]
	v_pk_add_f16 v50, v52, v50
	v_pk_add_f16 v52, v135, v63
	;; [unrolled: 1-line block ×3, first 2 shown]
	v_add_f16_e32 v46, v103, v46
	v_add_f16_e32 v15, v17, v15
	;; [unrolled: 1-line block ×11, first 2 shown]
	v_add_f16_e64 v37, v129, v38
	v_add_f16_e32 v38, v111, v40
	v_add_f16_e32 v40, v112, v42
	v_add_f16_e64 v42, v131, v43
	v_add_f16_e32 v43, v80, v44
	v_add_f16_e32 v54, v109, v58
	v_add_f16_e64 v22, v130, v22
	v_pk_add_f16 v44, v64, v50
	v_pk_add_f16 v45, v136, v52
	;; [unrolled: 1-line block ×3, first 2 shown]
	v_add_f16_e32 v46, v106, v46
	v_add_f16_e32 v15, v15, v16
	;; [unrolled: 1-line block ×8, first 2 shown]
	v_add_f16_e64 v21, v132, v37
	v_add_f16_e32 v37, v119, v40
	v_add_f16_e32 v40, v86, v43
	;; [unrolled: 1-line block ×7, first 2 shown]
	v_add_f16_e64 v22, v133, v22
	v_add_f16_e64 v38, v134, v42
	v_pk_add_f16 v42, v79, v44
	v_pk_add_f16 v43, v137, v45
	;; [unrolled: 1-line block ×3, first 2 shown]
	v_add_f16_e32 v46, v113, v46
	v_and_b32_e32 v15, 0xffff, v15
	v_lshlrev_b32_e32 v20, 16, v20
	v_pack_b32_f16 v23, v37, v51
	v_pack_b32_f16 v35, v40, v41
	;; [unrolled: 1-line block ×7, first 2 shown]
	v_alignbit_b32 v36, v39, v43, 16
	v_alignbit_b32 v37, v43, v42, 16
	v_pack_b32_f16 v17, v17, v46
	v_or_b32_e32 v15, v20, v15
	ds_store_2addr_b32 v26, v35, v23 offset0:7 offset1:8
	ds_store_2addr_b32 v26, v19, v18 offset0:9 offset1:10
	;; [unrolled: 1-line block ×5, first 2 shown]
	ds_store_b32 v26, v15
	global_wb scope:SCOPE_SE
	s_wait_dscnt 0x0
	s_barrier_signal -1
	s_barrier_wait -1
	global_inv scope:SCOPE_SE
	s_clause 0x2
	global_load_b128 v[15:18], v14, s[2:3] offset:48
	global_load_b128 v[19:22], v14, s[2:3] offset:64
	global_load_b64 v[35:36], v14, s[2:3] offset:80
	ds_load_2addr_b32 v[37:38], v26 offset1:1
	ds_load_2addr_b32 v[39:40], v26 offset0:2 offset1:3
	ds_load_2addr_b32 v[41:42], v26 offset0:4 offset1:5
	;; [unrolled: 1-line block ×4, first 2 shown]
	ds_load_b32 v14, v26 offset:40
	v_lshrrev_b32_e32 v23, 16, v4
	s_wait_dscnt 0x5
	v_lshrrev_b32_e32 v47, 16, v37
	s_delay_alu instid0(VALU_DEP_2)
	v_mul_f16_e32 v49, v37, v23
	v_lshrrev_b32_e32 v48, 16, v38
	s_wait_dscnt 0x4
	v_lshrrev_b32_e32 v50, 16, v39
	v_lshrrev_b32_e32 v51, 16, v40
	v_mul_f16_e32 v23, v47, v23
	v_fmac_f16_e32 v49, v47, v4
	s_wait_dscnt 0x3
	v_lshrrev_b32_e32 v52, 16, v41
	v_lshrrev_b32_e32 v53, 16, v42
	s_wait_dscnt 0x2
	v_lshrrev_b32_e32 v54, 16, v43
	v_fma_f16 v4, v37, v4, -v23
	v_lshrrev_b32_e32 v23, 16, v44
	s_wait_dscnt 0x1
	v_lshrrev_b32_e32 v37, 16, v45
	v_lshrrev_b32_e32 v47, 16, v46
	s_wait_dscnt 0x0
	v_lshrrev_b32_e32 v55, 16, v14
	v_pack_b32_f16 v4, v4, v49
	s_wait_loadcnt 0x2
	v_lshrrev_b32_e32 v49, 16, v15
	v_lshrrev_b32_e32 v56, 16, v16
	;; [unrolled: 1-line block ×4, first 2 shown]
	s_wait_loadcnt 0x1
	v_lshrrev_b32_e32 v59, 16, v19
	v_lshrrev_b32_e32 v60, 16, v20
	;; [unrolled: 1-line block ×4, first 2 shown]
	s_wait_loadcnt 0x0
	v_lshrrev_b32_e32 v63, 16, v35
	v_lshrrev_b32_e32 v64, 16, v36
	v_mul_f16_e32 v65, v48, v49
	v_mul_f16_e32 v49, v38, v49
	;; [unrolled: 1-line block ×20, first 2 shown]
	v_fma_f16 v38, v38, v15, -v65
	v_fmac_f16_e32 v49, v48, v15
	v_fma_f16 v15, v39, v16, -v66
	v_fmac_f16_e32 v56, v50, v16
	;; [unrolled: 2-line block ×10, first 2 shown]
	v_pack_b32_f16 v23, v38, v49
	v_pack_b32_f16 v16, v16, v57
	;; [unrolled: 1-line block ×10, first 2 shown]
	ds_store_2addr_b32 v26, v4, v23 offset1:1
	ds_store_2addr_b32 v26, v15, v16 offset0:2 offset1:3
	ds_store_2addr_b32 v26, v17, v18 offset0:4 offset1:5
	ds_store_2addr_b32 v26, v19, v20 offset0:6 offset1:7
	ds_store_2addr_b32 v26, v21, v22 offset0:8 offset1:9
	ds_store_b32 v26, v14 offset:40
	global_wb scope:SCOPE_SE
	s_wait_dscnt 0x0
	s_barrier_signal -1
	s_barrier_wait -1
	global_inv scope:SCOPE_SE
	ds_load_2addr_b32 v[18:19], v26 offset0:5 offset1:6
	ds_load_b32 v36, v26
	ds_load_2addr_b32 v[22:23], v26 offset0:1 offset1:2
	ds_load_2addr_b32 v[20:21], v26 offset0:3 offset1:4
	;; [unrolled: 1-line block ×4, first 2 shown]
	s_wait_dscnt 0x5
	v_alignbit_b32 v43, v19, v18, 16
	s_wait_dscnt 0x4
	v_lshrrev_b32_e32 v37, 16, v36
	s_wait_dscnt 0x3
	v_add_f16_e32 v45, v22, v36
	v_lshrrev_b32_e32 v46, 16, v22
	v_lshrrev_b32_e32 v44, 16, v23
	s_wait_dscnt 0x1
	v_pk_add_f16 v41, v14, v23
	v_pk_add_f16 v42, v23, v14 neg_lo:[0,1] neg_hi:[0,1]
	v_add_f16_e32 v23, v45, v23
	v_add_f16_e32 v45, v46, v37
	v_lshrrev_b32_e32 v39, 16, v20
	v_pk_add_f16 v40, v15, v22
	v_pk_add_f16 v22, v22, v15 neg_lo:[0,1] neg_hi:[0,1]
	s_wait_dscnt 0x0
	v_pk_add_f16 v48, v17, v20
	v_pk_add_f16 v47, v20, v17 neg_lo:[0,1] neg_hi:[0,1]
	v_add_f16_e32 v20, v23, v20
	v_add_f16_e32 v23, v45, v44
	v_lshrrev_b32_e32 v38, 16, v21
	v_pk_add_f16 v50, v16, v21
	v_pk_add_f16 v49, v21, v16 neg_lo:[0,1] neg_hi:[0,1]
	v_alignbit_b32 v51, v18, v19, 16
	v_pk_add_f16 v52, v18, v19 neg_lo:[0,1] neg_hi:[0,1]
	v_lshrrev_b32_e32 v46, 16, v22
	v_lshrrev_b32_e32 v57, 16, v40
	v_add_f16_e32 v20, v20, v21
	v_add_f16_e32 v21, v23, v39
	v_lshrrev_b32_e32 v35, 16, v18
	v_pk_mul_f16 v58, 0xbbad, v40 op_sel_hi:[0,1]
	v_lshrrev_b32_e32 v59, 16, v42
	v_lshrrev_b32_e32 v60, 16, v41
	;; [unrolled: 1-line block ×4, first 2 shown]
	v_pk_add_f16 v43, v43, v51
	v_lshrrev_b32_e32 v51, 16, v49
	v_lshrrev_b32_e32 v65, 16, v50
	;; [unrolled: 1-line block ×3, first 2 shown]
	v_pk_mul_f16 v68, 0xbbeb, v52 op_sel_hi:[0,1]
	v_mul_f16_e32 v44, 0xb853, v46
	v_mul_f16_e32 v45, 0x3abb, v57
	v_mul_f16_e32 v69, 0xbb47, v46
	v_mul_f16_e32 v70, 0x36a6, v57
	v_mul_f16_e32 v71, 0xbbeb, v46
	v_mul_f16_e32 v72, 0xb08e, v57
	v_mul_f16_e32 v46, 0xba0c, v46
	v_mul_f16_e32 v57, 0xb93d, v57
	v_add_f16_e32 v18, v20, v18
	v_add_f16_e32 v20, v21, v38
	v_lshrrev_b32_e32 v4, 16, v19
	v_pk_mul_f16 v61, 0x3abb, v41 op_sel_hi:[0,1]
	v_pk_mul_f16 v64, 0xb93d, v48 op_sel_hi:[0,1]
	;; [unrolled: 1-line block ×3, first 2 shown]
	v_pk_fma_f16 v73, 0xb482, v22, v58 op_sel:[0,0,1] op_sel_hi:[0,1,0]
	v_pk_fma_f16 v58, 0xb482, v22, v58 op_sel:[0,0,1] op_sel_hi:[0,1,0] neg_lo:[0,1,0] neg_hi:[0,1,0]
	v_mul_f16_e32 v74, 0xbb47, v59
	v_mul_f16_e32 v75, 0x36a6, v60
	;; [unrolled: 1-line block ×28, first 2 shown]
	v_lshrrev_b32_e32 v98, 16, v43
	v_pk_fma_f16 v99, 0xb08e, v43, v68 op_sel_hi:[0,1,1]
	v_pk_fma_f16 v68, 0xb08e, v43, v68 op_sel_hi:[0,1,1] neg_lo:[0,0,1] neg_hi:[0,0,1]
	v_mul_f16_e32 v100, 0xbbad, v43
	v_mul_f16_e32 v101, 0x3abb, v43
	;; [unrolled: 1-line block ×4, first 2 shown]
	v_fmamk_f16 v23, v40, 0x3abb, v44
	v_fmamk_f16 v39, v22, 0x3853, v45
	v_fma_f16 v44, v40, 0x3abb, -v44
	v_fmac_f16_e32 v45, 0xb853, v22
	v_fmamk_f16 v103, v40, 0x36a6, v69
	v_fmamk_f16 v104, v22, 0x3b47, v70
	v_fma_f16 v69, v40, 0x36a6, -v69
	v_fmac_f16_e32 v70, 0xbb47, v22
	;; [unrolled: 4-line block ×4, first 2 shown]
	v_add_f16_e32 v18, v18, v19
	v_add_f16_e32 v19, v20, v35
	v_lshrrev_b32_e32 v53, 16, v16
	v_pk_fma_f16 v80, 0x3853, v42, v61 op_sel:[0,0,1] op_sel_hi:[0,1,0]
	v_pk_fma_f16 v61, 0x3853, v42, v61 op_sel:[0,0,1] op_sel_hi:[0,1,0] neg_lo:[0,1,0] neg_hi:[0,1,0]
	v_pk_fma_f16 v87, 0xba0c, v47, v64 op_sel:[0,0,1] op_sel_hi:[0,1,0]
	v_pk_fma_f16 v64, 0xba0c, v47, v64 op_sel:[0,0,1] op_sel_hi:[0,1,0] neg_lo:[0,1,0] neg_hi:[0,1,0]
	;; [unrolled: 2-line block ×3, first 2 shown]
	v_fmamk_f16 v22, v41, 0x36a6, v74
	v_fmamk_f16 v46, v42, 0x3b47, v75
	v_fma_f16 v74, v41, 0x36a6, -v74
	v_fmac_f16_e32 v75, 0xbb47, v42
	v_fmamk_f16 v109, v41, 0xb93d, v76
	v_fmamk_f16 v110, v42, 0x3a0c, v77
	v_fma_f16 v76, v41, 0xb93d, -v76
	v_fmac_f16_e32 v77, 0xba0c, v42
	;; [unrolled: 4-line block ×4, first 2 shown]
	v_fmamk_f16 v42, v48, 0xb08e, v81
	v_fma_f16 v59, v48, 0xb08e, -v81
	v_fmamk_f16 v81, v48, 0xbbad, v83
	v_fma_f16 v83, v48, 0xbbad, -v83
	;; [unrolled: 2-line block ×4, first 2 shown]
	v_fmamk_f16 v62, v47, 0x3beb, v82
	v_fmac_f16_e32 v82, 0xbbeb, v47
	v_fmamk_f16 v117, v47, 0xb482, v84
	v_fmac_f16_e32 v84, 0x3482, v47
	;; [unrolled: 2-line block ×4, first 2 shown]
	v_fmamk_f16 v47, v50, 0xb93d, v88
	v_fma_f16 v88, v50, 0xb93d, -v88
	v_fmamk_f16 v120, v50, 0xb08e, v89
	v_fma_f16 v89, v50, 0xb08e, -v89
	;; [unrolled: 2-line block ×4, first 2 shown]
	v_fmamk_f16 v51, v49, 0x3a0c, v91
	v_fmac_f16_e32 v91, 0xba0c, v49
	v_fmamk_f16 v123, v49, 0xbbeb, v92
	v_fmac_f16_e32 v92, 0x3beb, v49
	;; [unrolled: 2-line block ×4, first 2 shown]
	v_fmamk_f16 v49, v98, 0xbbad, v95
	v_fma_f16 v95, v98, 0xbbad, -v95
	v_fmamk_f16 v126, v98, 0x3abb, v96
	v_fma_f16 v96, v98, 0x3abb, -v96
	;; [unrolled: 2-line block ×3, first 2 shown]
	v_fma_f16 v128, 0x36a6, v98, v67
	v_fma_f16 v67, v98, 0x36a6, -v67
	v_fmamk_f16 v98, v52, 0x3482, v100
	v_fmac_f16_e32 v100, 0xb482, v52
	v_fma_f16 v129, 0xb853, v52, v101
	v_fmac_f16_e32 v101, 0x3853, v52
	v_fma_f16 v130, 0x3a0c, v52, v102
	;; [unrolled: 2-line block ×3, first 2 shown]
	v_fmac_f16_e32 v43, 0x3b47, v52
	v_pk_add_f16 v52, v73, v36 op_sel:[0,1] op_sel_hi:[1,0]
	v_pk_add_f16 v58, v58, v36 op_sel:[0,1] op_sel_hi:[1,0]
	v_add_f16_e32 v21, v23, v36
	v_add_f16_e32 v23, v44, v36
	;; [unrolled: 1-line block ×17, first 2 shown]
	v_lshrrev_b32_e32 v54, 16, v17
	v_pk_add_f16 v57, v61, v58
	v_add_f16_e32 v20, v22, v21
	v_add_f16_e32 v21, v46, v39
	;; [unrolled: 1-line block ×16, first 2 shown]
	v_pk_add_f16 v52, v80, v52
	v_add_f16_e32 v61, v113, v73
	v_add_f16_e32 v69, v114, v104
	v_lshrrev_b32_e32 v55, 16, v14
	v_add_f16_e32 v19, v42, v20
	v_add_f16_e32 v20, v62, v21
	;; [unrolled: 1-line block ×16, first 2 shown]
	v_pk_add_f16 v41, v87, v52
	v_pk_add_f16 v52, v64, v57
	v_add_f16_e32 v46, v116, v61
	v_add_f16_e32 v57, v119, v69
	v_lshrrev_b32_e32 v56, 16, v15
	v_add_f16_e32 v17, v47, v19
	v_add_f16_e32 v19, v51, v20
	;; [unrolled: 1-line block ×16, first 2 shown]
	v_pk_add_f16 v37, v94, v41
	v_pk_add_f16 v41, v66, v52
	v_add_f16_e32 v45, v122, v46
	v_add_f16_e32 v46, v125, v57
	;; [unrolled: 1-line block ×7, first 2 shown]
	v_add_f16_e64 v22, v129, v23
	v_add_f16_e32 v23, v96, v35
	v_add_f16_e32 v35, v101, v38
	;; [unrolled: 1-line block ×3, first 2 shown]
	v_add_f16_e64 v39, v130, v40
	v_add_f16_e32 v40, v97, v42
	v_add_f16_e32 v42, v102, v44
	;; [unrolled: 1-line block ×6, first 2 shown]
	v_pk_add_f16 v37, v99, v37
	v_pk_add_f16 v41, v68, v41
	v_add_f16_e64 v44, v128, v45
	v_add_f16_e64 v45, v131, v46
	v_pack_b32_f16 v16, v16, v17
	v_pack_b32_f16 v17, v40, v42
	;; [unrolled: 1-line block ×3, first 2 shown]
	v_and_b32_e32 v14, 0xffff, v14
	v_lshlrev_b32_e32 v4, 16, v4
	v_pack_b32_f16 v19, v19, v20
	v_pack_b32_f16 v20, v23, v35
	;; [unrolled: 1-line block ×3, first 2 shown]
	v_alignbit_b32 v43, v37, v41, 16
	v_alignbit_b32 v37, v41, v37, 16
	v_pack_b32_f16 v21, v44, v45
	v_pack_b32_f16 v22, v38, v39
	v_or_b32_e32 v4, v4, v14
	ds_store_2addr_b32 v26, v18, v17 offset0:7 offset1:8
	ds_store_2addr_b32 v26, v20, v19 offset0:9 offset1:10
	;; [unrolled: 1-line block ×5, first 2 shown]
	ds_store_b32 v26, v4
	global_wb scope:SCOPE_SE
	s_wait_dscnt 0x0
	s_barrier_signal -1
	s_barrier_wait -1
	global_inv scope:SCOPE_SE
	ds_load_2addr_b32 v[18:19], v26 offset1:1
	ds_load_2addr_b32 v[20:21], v26 offset0:2 offset1:3
	ds_load_2addr_b32 v[16:17], v26 offset0:4 offset1:5
	;; [unrolled: 1-line block ×3, first 2 shown]
	v_mad_co_u64_u32 v[43:44], null, s10, v13, 0
	s_wait_dscnt 0x3
	v_lshrrev_b32_e32 v4, 16, v18
	v_mul_f16_e32 v22, v34, v18
	v_lshrrev_b32_e32 v35, 16, v19
	v_mul_f16_e32 v23, v33, v19
	s_wait_dscnt 0x2
	v_lshrrev_b32_e32 v36, 16, v20
	v_mul_f16_e32 v37, v32, v20
	v_fma_f16 v22, v9, v4, -v22
	v_mul_f16_e32 v4, v34, v4
	v_fma_f16 v23, v10, v35, -v23
	;; [unrolled: 2-line block ×3, first 2 shown]
	v_cvt_f32_f16_e32 v22, v22
	v_fmac_f16_e32 v4, v9, v18
	v_cvt_f32_f16_e32 v37, v23
	v_mul_f16_e32 v18, v33, v35
	v_cvt_f32_f16_e32 v9, v34
	v_cvt_f64_f32_e32 v[22:23], v22
	v_cvt_f32_f16_e32 v4, v4
	v_cvt_f64_f32_e32 v[33:34], v37
	v_fmac_f16_e32 v18, v10, v19
	v_cvt_f64_f32_e32 v[9:10], v9
	v_fmac_f16_e32 v32, v11, v20
	v_cvt_f64_f32_e32 v[35:36], v4
	v_lshrrev_b32_e32 v11, 16, v21
	v_cvt_f32_f16_e32 v4, v18
	s_delay_alu instid0(VALU_DEP_2) | instskip(NEXT) | instid1(VALU_DEP_2)
	v_mul_f16_e32 v18, v31, v11
	v_cvt_f64_f32_e32 v[37:38], v4
	v_cvt_f32_f16_e32 v4, v32
	s_delay_alu instid0(VALU_DEP_3) | instskip(NEXT) | instid1(VALU_DEP_2)
	v_fmac_f16_e32 v18, v12, v21
	v_cvt_f64_f32_e32 v[39:40], v4
	s_delay_alu instid0(VALU_DEP_2) | instskip(NEXT) | instid1(VALU_DEP_1)
	v_cvt_f32_f16_e32 v4, v18
	v_cvt_f64_f32_e32 v[41:42], v4
	v_mov_b32_e32 v4, v44
	v_mul_f64_e32 v[22:23], s[12:13], v[22:23]
	v_mul_f64_e32 v[32:33], s[12:13], v[33:34]
	;; [unrolled: 1-line block ×3, first 2 shown]
	s_delay_alu instid0(VALU_DEP_4) | instskip(SKIP_3) | instid1(VALU_DEP_2)
	v_mad_co_u64_u32 v[9:10], null, s11, v13, v[4:5]
	v_mul_f64_e32 v[34:35], s[12:13], v[35:36]
	v_mul_f16_e32 v4, v31, v21
	v_mul_f64_e32 v[36:37], s[12:13], v[37:38]
	v_fma_f16 v4, v12, v11, -v4
	v_mov_b32_e32 v44, v9
	v_mul_f64_e32 v[20:21], s[12:13], v[39:40]
	s_delay_alu instid0(VALU_DEP_3) | instskip(NEXT) | instid1(VALU_DEP_3)
	v_cvt_f32_f16_e32 v4, v4
	v_lshlrev_b64_e32 v[9:10], 2, v[43:44]
	s_delay_alu instid0(VALU_DEP_2) | instskip(NEXT) | instid1(VALU_DEP_2)
	v_cvt_f64_f32_e32 v[38:39], v4
	v_add_co_u32 v9, vcc_lo, s0, v9
	s_wait_alu 0xfffd
	s_delay_alu instid0(VALU_DEP_3)
	v_add_co_ci_u32_e32 v10, vcc_lo, s1, v10, vcc_lo
	v_mul_f64_e32 v[11:12], s[12:13], v[41:42]
	v_and_or_b32 v4, 0x1ff, v23, v22
	v_lshrrev_b32_e32 v13, 8, v23
	v_and_or_b32 v31, 0x1ff, v33, v32
	v_bfe_u32 v22, v23, 20, 11
	v_and_or_b32 v18, 0x1ff, v19, v18
	v_cmp_ne_u32_e32 vcc_lo, 0, v4
	v_lshrrev_b32_e32 v32, 8, v33
	v_and_or_b32 v34, 0x1ff, v35, v34
	v_bfe_u32 v44, v35, 20, 11
	v_bfe_u32 v40, v33, 20, 11
	s_wait_alu 0xfffd
	v_cndmask_b32_e64 v4, 0, 1, vcc_lo
	v_cmp_ne_u32_e32 vcc_lo, 0, v31
	v_lshrrev_b32_e32 v43, 8, v35
	v_and_or_b32 v36, 0x1ff, v37, v36
	v_sub_nc_u32_e32 v45, 0x3f1, v22
	v_and_or_b32 v4, 0xffe, v13, v4
	s_wait_alu 0xfffd
	v_cndmask_b32_e64 v31, 0, 1, vcc_lo
	v_cmp_ne_u32_e32 vcc_lo, 0, v18
	v_add_nc_u32_e32 v22, 0xfffffc10, v22
	v_and_or_b32 v20, 0x1ff, v21, v20
	v_bfe_u32 v47, v37, 20, 11
	v_sub_nc_u32_e32 v52, 0x3f1, v44
	s_wait_alu 0xfffd
	v_cndmask_b32_e64 v18, 0, 1, vcc_lo
	v_cmp_ne_u32_e32 vcc_lo, 0, v34
	v_and_or_b32 v31, 0xffe, v32, v31
	v_lshrrev_b32_e32 v46, 8, v37
	v_sub_nc_u32_e32 v48, 0x3f1, v40
	v_add_nc_u32_e32 v40, 0xfffffc10, v40
	s_wait_alu 0xfffd
	v_cndmask_b32_e64 v34, 0, 1, vcc_lo
	v_cmp_ne_u32_e32 vcc_lo, 0, v36
	v_bfe_u32 v50, v21, 20, 11
	v_sub_nc_u32_e32 v53, 0x3f1, v47
	v_med3_i32 v32, v52, 0, 13
	v_and_or_b32 v34, 0xffe, v43, v34
	s_wait_alu 0xfffd
	v_cndmask_b32_e64 v13, 0, 1, vcc_lo
	v_cmp_ne_u32_e32 vcc_lo, 0, v20
	v_or_b32_e32 v43, 0x1000, v4
	v_lshl_or_b32 v52, v22, 12, v4
	v_lshrrev_b32_e32 v41, 8, v19
	v_add_nc_u32_e32 v44, 0xfffffc10, v44
	s_wait_alu 0xfffd
	v_cndmask_b32_e64 v20, 0, 1, vcc_lo
	v_cmp_ne_u32_e32 vcc_lo, 0, v4
	v_med3_i32 v45, v45, 0, 13
	v_sub_nc_u32_e32 v54, 0x3f1, v50
	v_med3_i32 v36, v53, 0, 13
	v_and_or_b32 v13, 0xffe, v46, v13
	s_wait_alu 0xfffd
	v_cndmask_b32_e64 v4, 0, 1, vcc_lo
	v_cmp_ne_u32_e32 vcc_lo, 0, v31
	v_or_b32_e32 v46, 0x1000, v31
	v_lshl_or_b32 v53, v40, 12, v31
	v_med3_i32 v48, v48, 0, 13
	v_and_or_b32 v18, 0xffe, v41, v18
	s_wait_alu 0xfffd
	v_cndmask_b32_e64 v31, 0, 1, vcc_lo
	v_cmp_ne_u32_e32 vcc_lo, 0, v34
	v_med3_i32 v41, v54, 0, 13
	v_or_b32_e32 v54, 0x1000, v34
	v_lshl_or_b32 v55, v44, 12, v34
	v_lshrrev_b32_e32 v56, v45, v43
	s_wait_alu 0xfffd
	v_cndmask_b32_e64 v34, 0, 1, vcc_lo
	v_add_nc_u32_e32 v47, 0xfffffc10, v47
	v_lshrrev_b32_e32 v59, v48, v46
	v_cmp_ne_u32_e32 vcc_lo, 0, v13
	v_or_b32_e32 v57, 0x1000, v13
	v_lshl_or_b32 v34, v34, 9, 0x7c00
	v_lshlrev_b32_e32 v45, v45, v56
	v_lshl_or_b32 v58, v47, 12, v13
	s_wait_alu 0xfffd
	v_cndmask_b32_e64 v13, 0, 1, vcc_lo
	v_lshrrev_b32_e32 v63, v32, v54
	v_lshlrev_b32_e32 v48, v48, v59
	v_cmp_ne_u32_e32 vcc_lo, v45, v43
	v_lshrrev_b32_e32 v49, 8, v21
	v_lshrrev_b32_e32 v64, v36, v57
	v_lshlrev_b32_e32 v32, v32, v63
	v_bfe_u32 v42, v19, 20, 11
	s_wait_alu 0xfffd
	v_cndmask_b32_e64 v43, 0, 1, vcc_lo
	v_cmp_ne_u32_e32 vcc_lo, v48, v46
	v_and_or_b32 v20, 0xffe, v49, v20
	v_lshlrev_b32_e32 v36, v36, v64
	v_sub_nc_u32_e32 v51, 0x3f1, v42
	v_or_b32_e32 v43, v56, v43
	s_wait_alu 0xfffd
	v_cndmask_b32_e64 v45, 0, 1, vcc_lo
	v_cmp_ne_u32_e32 vcc_lo, v32, v54
	v_or_b32_e32 v60, 0x1000, v20
	v_med3_i32 v51, v51, 0, 13
	v_or_b32_e32 v49, 0x1000, v18
	v_or_b32_e32 v45, v59, v45
	s_wait_alu 0xfffd
	v_cndmask_b32_e64 v32, 0, 1, vcc_lo
	v_cmp_ne_u32_e32 vcc_lo, v36, v57
	v_lshrrev_b32_e32 v65, v41, v60
	v_lshrrev_b32_e32 v62, v51, v49
	v_add_nc_u32_e32 v50, 0xfffffc10, v50
	v_or_b32_e32 v32, v63, v32
	s_wait_alu 0xfffd
	v_cndmask_b32_e64 v36, 0, 1, vcc_lo
	v_lshl_or_b32 v13, v13, 9, 0x7c00
	v_lshrrev_b32_e32 v37, 16, v37
	v_lshl_or_b32 v61, v50, 12, v20
	v_lshl_or_b32 v4, v4, 9, 0x7c00
	v_or_b32_e32 v36, v64, v36
	v_lshlrev_b32_e32 v41, v41, v65
	v_lshrrev_b32_e32 v35, 16, v35
	v_lshl_or_b32 v31, v31, 9, 0x7c00
	v_lshrrev_b32_e32 v23, 16, v23
	v_lshrrev_b32_e32 v33, 16, v33
	v_cmp_ne_u32_e32 vcc_lo, v41, v60
	v_and_or_b32 v11, 0x1ff, v12, v11
	v_lshrrev_b32_e32 v19, 16, v19
	s_wait_alu 0xfffd
	v_cndmask_b32_e64 v41, 0, 1, vcc_lo
	v_cmp_gt_i32_e32 vcc_lo, 1, v22
	s_delay_alu instid0(VALU_DEP_2) | instskip(SKIP_4) | instid1(VALU_DEP_2)
	v_or_b32_e32 v41, v65, v41
	s_wait_alu 0xfffd
	v_cndmask_b32_e32 v43, v52, v43, vcc_lo
	v_cmp_gt_i32_e32 vcc_lo, 1, v40
	s_wait_alu 0xfffd
	v_dual_cndmask_b32 v45, v53, v45 :: v_dual_and_b32 v46, 7, v43
	v_cmp_gt_i32_e32 vcc_lo, 1, v44
	v_lshrrev_b32_e32 v43, 2, v43
	s_delay_alu instid0(VALU_DEP_3) | instskip(NEXT) | instid1(VALU_DEP_4)
	v_cmp_eq_u32_e64 s0, 3, v46
	v_and_b32_e32 v48, 7, v45
	s_wait_alu 0xfffd
	v_cndmask_b32_e32 v32, v55, v32, vcc_lo
	v_cmp_gt_i32_e32 vcc_lo, 1, v47
	v_lshrrev_b32_e32 v45, 2, v45
	v_cmp_lt_i32_e64 s1, 5, v48
	s_delay_alu instid0(VALU_DEP_4)
	v_and_b32_e32 v52, 7, v32
	s_wait_alu 0xfffd
	v_cndmask_b32_e32 v36, v58, v36, vcc_lo
	v_cmp_lt_i32_e32 vcc_lo, 5, v46
	v_cmp_eq_u32_e64 s4, 3, v48
	v_lshrrev_b32_e32 v32, 2, v32
	v_cmp_lt_i32_e64 s2, 5, v52
	v_and_b32_e32 v46, 7, v36
	v_cmp_eq_u32_e64 s3, 3, v52
	s_or_b32 vcc_lo, s0, vcc_lo
	v_lshrrev_b32_e32 v36, 2, v36
	s_wait_alu 0xfffe
	v_add_co_ci_u32_e32 v43, vcc_lo, 0, v43, vcc_lo
	s_or_b32 vcc_lo, s4, s1
	v_cmp_lt_i32_e64 s5, 5, v46
	v_cmp_eq_u32_e64 s6, 3, v46
	s_or_b32 s2, s3, s2
	s_wait_alu 0xfffe
	v_add_co_ci_u32_e32 v45, vcc_lo, 0, v45, vcc_lo
	v_add_co_ci_u32_e64 v32, s2, 0, v32, s2
	v_cmp_gt_i32_e32 vcc_lo, 31, v44
	s_or_b32 s2, s6, s5
	s_lshl_b64 s[4:5], s[8:9], 5
	s_wait_alu 0xfffe
	v_add_co_ci_u32_e64 v36, s2, 0, v36, s2
	s_wait_alu 0xfffd
	v_cndmask_b32_e32 v32, 0x7c00, v32, vcc_lo
	v_cmp_gt_i32_e32 vcc_lo, 31, v47
	s_lshl_b64 s[2:3], s[8:9], 2
	s_wait_alu 0xfffd
	v_cndmask_b32_e32 v36, 0x7c00, v36, vcc_lo
	v_cmp_gt_i32_e32 vcc_lo, 31, v22
	s_wait_alu 0xfffd
	v_cndmask_b32_e32 v43, 0x7c00, v43, vcc_lo
	v_cmp_gt_i32_e32 vcc_lo, 31, v40
	s_wait_alu 0xfffd
	v_cndmask_b32_e32 v45, 0x7c00, v45, vcc_lo
	v_cmp_eq_u32_e32 vcc_lo, 0x40f, v44
	s_wait_alu 0xfffd
	v_cndmask_b32_e32 v32, v32, v34, vcc_lo
	v_cmp_eq_u32_e32 vcc_lo, 0x40f, v47
	s_wait_alu 0xfffd
	v_cndmask_b32_e32 v13, v36, v13, vcc_lo
	v_cmp_gt_i32_e32 vcc_lo, 1, v50
	s_delay_alu instid0(VALU_DEP_2)
	v_and_or_b32 v13, 0x8000, v37, v13
	s_wait_alu 0xfffd
	v_cndmask_b32_e32 v34, v61, v41, vcc_lo
	v_cmp_eq_u32_e32 vcc_lo, 0x40f, v22
	s_wait_alu 0xfffd
	v_dual_cndmask_b32 v4, v43, v4 :: v_dual_and_b32 v13, 0xffff, v13
	v_cmp_eq_u32_e32 vcc_lo, 0x40f, v40
	s_delay_alu instid0(VALU_DEP_2) | instskip(SKIP_4) | instid1(VALU_DEP_3)
	v_and_or_b32 v4, 0x8000, v23, v4
	s_wait_alu 0xfffd
	v_cndmask_b32_e32 v22, v45, v31, vcc_lo
	v_and_or_b32 v31, 0x8000, v35, v32
	v_add_nc_u32_e32 v35, 0xfffffc10, v42
	v_and_or_b32 v22, 0x8000, v33, v22
	s_delay_alu instid0(VALU_DEP_3)
	v_and_b32_e32 v23, 0xffff, v31
	v_and_b32_e32 v32, 7, v34
	v_lshlrev_b32_e32 v31, v51, v62
	v_lshl_or_b32 v36, v35, 12, v18
	v_lshl_or_b32 v13, v22, 16, v13
	;; [unrolled: 1-line block ×3, first 2 shown]
	v_cmp_lt_i32_e32 vcc_lo, 5, v32
	v_cmp_eq_u32_e64 s0, 3, v32
	v_lshrrev_b32_e32 v32, 2, v34
	s_wait_dscnt 0x1
	v_lshrrev_b32_e32 v34, 16, v16
	v_mul_f64_e32 v[22:23], s[12:13], v[38:39]
	v_bfe_u32 v38, v12, 20, 11
	s_or_b32 vcc_lo, s0, vcc_lo
	global_store_b32 v[9:10], v33, off
	s_wait_alu 0xfffe
	v_add_co_ci_u32_e32 v4, vcc_lo, 0, v32, vcc_lo
	v_cmp_ne_u32_e32 vcc_lo, v31, v49
	v_mul_f16_e32 v32, v30, v34
	s_wait_alu 0xfffd
	v_cndmask_b32_e64 v31, 0, 1, vcc_lo
	v_cmp_ne_u32_e32 vcc_lo, 0, v20
	s_delay_alu instid0(VALU_DEP_3)
	v_fmac_f16_e32 v32, v5, v16
	v_mul_f16_e32 v16, v30, v16
	v_lshrrev_b32_e32 v30, 16, v21
	v_or_b32_e32 v31, v62, v31
	s_wait_alu 0xfffd
	v_cndmask_b32_e64 v20, 0, 1, vcc_lo
	v_cmp_gt_i32_e32 vcc_lo, 31, v50
	v_fma_f16 v5, v5, v34, -v16
	s_delay_alu instid0(VALU_DEP_3)
	v_lshl_or_b32 v20, v20, 9, 0x7c00
	s_wait_alu 0xfffd
	v_cndmask_b32_e32 v4, 0x7c00, v4, vcc_lo
	v_cmp_gt_i32_e32 vcc_lo, 1, v35
	v_cvt_f32_f16_e32 v5, v5
	s_wait_alu 0xfffd
	v_cndmask_b32_e32 v36, v36, v31, vcc_lo
	v_cmp_eq_u32_e32 vcc_lo, 0x40f, v50
	v_cvt_f32_f16_e32 v31, v32
	s_wait_alu 0xfffd
	v_cndmask_b32_e32 v37, v4, v20, vcc_lo
	v_and_b32_e32 v4, 7, v36
	v_cmp_ne_u32_e32 vcc_lo, 0, v11
	v_cvt_f64_f32_e32 v[31:32], v31
	v_lshrrev_b32_e32 v20, 8, v12
	v_and_or_b32 v22, 0x1ff, v23, v22
	v_cmp_eq_u32_e64 s0, 3, v4
	s_wait_alu 0xfffd
	v_cndmask_b32_e64 v11, 0, 1, vcc_lo
	v_cmp_lt_i32_e32 vcc_lo, 5, v4
	v_lshrrev_b32_e32 v4, 2, v36
	v_and_or_b32 v37, 0x8000, v30, v37
	s_delay_alu instid0(VALU_DEP_4)
	v_and_or_b32 v11, 0xffe, v20, v11
	s_or_b32 vcc_lo, s0, vcc_lo
	v_sub_nc_u32_e32 v20, 0x3f1, v38
	s_wait_alu 0xfffe
	v_add_co_ci_u32_e32 v21, vcc_lo, 0, v4, vcc_lo
	v_cvt_f64_f32_e32 v[4:5], v5
	v_or_b32_e32 v16, 0x1000, v11
	v_med3_i32 v20, v20, 0, 13
	v_cmp_ne_u32_e32 vcc_lo, 0, v18
	s_delay_alu instid0(VALU_DEP_2) | instskip(SKIP_3) | instid1(VALU_DEP_3)
	v_lshrrev_b32_e32 v34, v20, v16
	s_wait_alu 0xfffd
	v_cndmask_b32_e64 v18, 0, 1, vcc_lo
	v_cmp_gt_i32_e32 vcc_lo, 31, v35
	v_lshlrev_b32_e32 v39, v20, v34
	s_delay_alu instid0(VALU_DEP_3)
	v_lshl_or_b32 v18, v18, 9, 0x7c00
	s_wait_alu 0xfffd
	v_cndmask_b32_e32 v36, 0x7c00, v21, vcc_lo
	v_add_co_u32 v20, vcc_lo, v9, s2
	s_wait_alu 0xfffd
	v_add_co_ci_u32_e32 v21, vcc_lo, s3, v10, vcc_lo
	v_cmp_eq_u32_e32 vcc_lo, 0x40f, v35
	v_lshrrev_b32_e32 v35, 8, v23
	s_lshl_b64 s[2:3], s[8:9], 3
	global_store_b32 v[20:21], v13, off
	s_wait_alu 0xfffd
	v_cndmask_b32_e32 v18, v36, v18, vcc_lo
	v_cmp_ne_u32_e32 vcc_lo, 0, v22
	v_mul_f64_e32 v[30:31], s[12:13], v[31:32]
	v_bfe_u32 v32, v23, 20, 11
	v_add_nc_u32_e32 v36, 0xfffffc10, v38
	v_and_or_b32 v18, 0x8000, v19, v18
	s_wait_alu 0xfffd
	v_cndmask_b32_e64 v22, 0, 1, vcc_lo
	v_cmp_ne_u32_e32 vcc_lo, v39, v16
	v_and_b32_e32 v19, 0xffff, v37
	v_lshrrev_b32_e32 v23, 16, v23
	s_delay_alu instid0(VALU_DEP_4)
	v_and_or_b32 v22, 0xffe, v35, v22
	s_wait_alu 0xfffd
	v_cndmask_b32_e64 v16, 0, 1, vcc_lo
	v_sub_nc_u32_e32 v35, 0x3f1, v32
	v_mul_f64_e32 v[4:5], s[12:13], v[4:5]
	v_cmp_gt_i32_e32 vcc_lo, 1, v36
	v_or_b32_e32 v38, 0x1000, v22
	v_or_b32_e32 v16, v34, v16
	v_lshl_or_b32 v34, v36, 12, v11
	v_med3_i32 v35, v35, 0, 13
	v_add_nc_u32_e32 v32, 0xfffffc10, v32
	s_wait_alu 0xfffd
	s_delay_alu instid0(VALU_DEP_3) | instskip(NEXT) | instid1(VALU_DEP_3)
	v_cndmask_b32_e32 v16, v34, v16, vcc_lo
	v_lshrrev_b32_e32 v33, v35, v38
	v_lshl_or_b32 v34, v18, 16, v19
	v_lshl_or_b32 v20, v32, 12, v22
	s_delay_alu instid0(VALU_DEP_4) | instskip(NEXT) | instid1(VALU_DEP_4)
	v_and_b32_e32 v13, 7, v16
	v_lshlrev_b32_e32 v18, v35, v33
	v_lshrrev_b32_e32 v16, 2, v16
	s_delay_alu instid0(VALU_DEP_3) | instskip(SKIP_3) | instid1(VALU_DEP_3)
	v_cmp_lt_i32_e32 vcc_lo, 5, v13
	v_cmp_eq_u32_e64 s0, 3, v13
	v_lshrrev_b32_e32 v13, 16, v17
	v_cmp_ne_u32_e64 s1, v18, v38
	s_or_b32 vcc_lo, s0, vcc_lo
	s_delay_alu instid0(VALU_DEP_2)
	v_mul_f16_e32 v19, v29, v13
	s_wait_alu 0xfffe
	v_add_co_ci_u32_e32 v16, vcc_lo, 0, v16, vcc_lo
	v_cndmask_b32_e64 v18, 0, 1, s1
	v_cmp_ne_u32_e32 vcc_lo, 0, v11
	v_fmac_f16_e32 v19, v6, v17
	v_mul_f16_e32 v17, v29, v17
	v_and_or_b32 v21, 0x1ff, v31, v30
	v_or_b32_e32 v18, v33, v18
	s_wait_alu 0xfffd
	v_cndmask_b32_e64 v11, 0, 1, vcc_lo
	v_cvt_f32_f16_e32 v19, v19
	v_cmp_gt_i32_e32 vcc_lo, 1, v32
	v_fma_f16 v6, v6, v13, -v17
	v_bfe_u32 v13, v5, 20, 11
	v_lshl_or_b32 v11, v11, 9, 0x7c00
	v_lshrrev_b32_e32 v37, 8, v31
	s_wait_alu 0xfffd
	v_cndmask_b32_e32 v30, v20, v18, vcc_lo
	v_cmp_gt_i32_e32 vcc_lo, 31, v36
	v_cvt_f64_f32_e32 v[18:19], v19
	v_bfe_u32 v38, v31, 20, 11
	v_and_or_b32 v4, 0x1ff, v5, v4
	s_wait_alu 0xfffd
	v_dual_cndmask_b32 v16, 0x7c00, v16 :: v_dual_and_b32 v33, 7, v30
	v_cmp_ne_u32_e32 vcc_lo, 0, v21
	v_lshrrev_b32_e32 v29, 8, v5
	v_cmp_ne_u32_e64 s1, 0, v4
	s_delay_alu instid0(VALU_DEP_4)
	v_cmp_eq_u32_e64 s0, 3, v33
	s_wait_alu 0xfffd
	v_cndmask_b32_e64 v35, 0, 1, vcc_lo
	v_add_co_u32 v20, vcc_lo, v9, s2
	s_wait_alu 0xfffd
	v_add_co_ci_u32_e32 v21, vcc_lo, s3, v10, vcc_lo
	v_cmp_eq_u32_e32 vcc_lo, 0x40f, v36
	v_and_or_b32 v35, 0xffe, v37, v35
	s_wait_alu 0xf1ff
	v_cndmask_b32_e64 v4, 0, 1, s1
	global_store_b32 v[20:21], v34, off
	s_lshl_b64 s[2:3], s[8:9], 4
	s_wait_alu 0xfffd
	v_cndmask_b32_e32 v36, v16, v11, vcc_lo
	v_sub_nc_u32_e32 v11, 0x3f1, v38
	v_lshrrev_b32_e32 v16, 2, v30
	v_or_b32_e32 v30, 0x1000, v35
	v_cmp_lt_i32_e32 vcc_lo, 5, v33
	v_and_or_b32 v29, 0xffe, v29, v4
	v_med3_i32 v11, v11, 0, 13
	v_cvt_f32_f16_e32 v4, v6
	v_sub_nc_u32_e32 v6, 0x3f1, v13
	s_or_b32 vcc_lo, s0, vcc_lo
	v_or_b32_e32 v39, 0x1000, v29
	v_lshrrev_b32_e32 v37, v11, v30
	s_wait_alu 0xfffe
	v_add_co_ci_u32_e32 v33, vcc_lo, 0, v16, vcc_lo
	v_cmp_ne_u32_e32 vcc_lo, 0, v22
	v_cvt_f64_f32_e32 v[16:17], v4
	v_lshlrev_b32_e32 v11, v11, v37
	v_med3_i32 v4, v6, 0, 13
	v_mul_f64_e32 v[18:19], s[12:13], v[18:19]
	s_wait_alu 0xfffd
	v_cndmask_b32_e64 v22, 0, 1, vcc_lo
	v_cmp_ne_u32_e32 vcc_lo, v11, v30
	v_add_nc_u32_e32 v30, 0xfffffc10, v38
	v_lshrrev_b32_e32 v38, v4, v39
	s_delay_alu instid0(VALU_DEP_4) | instskip(SKIP_4) | instid1(VALU_DEP_3)
	v_lshl_or_b32 v22, v22, 9, 0x7c00
	s_wait_alu 0xfffd
	v_cndmask_b32_e64 v6, 0, 1, vcc_lo
	v_cmp_gt_i32_e32 vcc_lo, 31, v32
	v_lshlrev_b32_e32 v4, v4, v38
	v_or_b32_e32 v6, v37, v6
	s_wait_alu 0xfffd
	v_cndmask_b32_e32 v11, 0x7c00, v33, vcc_lo
	v_cmp_eq_u32_e32 vcc_lo, 0x40f, v32
	v_lshl_or_b32 v33, v30, 12, v35
	v_lshrrev_b32_e32 v37, 16, v12
	s_wait_alu 0xfffd
	v_cndmask_b32_e32 v22, v11, v22, vcc_lo
	v_cmp_gt_i32_e32 vcc_lo, 1, v30
	s_delay_alu instid0(VALU_DEP_3)
	v_and_or_b32 v32, 0x8000, v37, v36
	v_add_nc_u32_e32 v37, 0xfffffc10, v13
	v_mad_co_u64_u32 v[11:12], null, s8, 12, v[9:10]
	s_wait_alu 0xfffd
	v_cndmask_b32_e32 v6, v33, v6, vcc_lo
	v_cmp_ne_u32_e32 vcc_lo, v4, v39
	s_wait_dscnt 0x0
	v_lshrrev_b32_e32 v39, 16, v14
	v_and_or_b32 v36, 0x8000, v23, v22
	v_lshl_or_b32 v22, v37, 12, v29
	v_and_b32_e32 v33, 7, v6
	s_wait_alu 0xfffd
	v_cndmask_b32_e64 v4, 0, 1, vcc_lo
	v_lshrrev_b32_e32 v6, 2, v6
	v_cmp_gt_i32_e64 s1, 1, v37
	v_mul_f16_e32 v23, v28, v39
	v_cmp_lt_i32_e32 vcc_lo, 5, v33
	v_cmp_eq_u32_e64 s0, 3, v33
	v_or_b32_e32 v13, v38, v4
	v_mov_b32_e32 v4, v12
	v_fmac_f16_e32 v23, v7, v14
	v_bfe_u32 v38, v19, 20, 11
	s_or_b32 vcc_lo, s0, vcc_lo
	v_cndmask_b32_e64 v22, v22, v13, s1
	s_wait_alu 0xfffe
	v_add_co_ci_u32_e32 v6, vcc_lo, 0, v6, vcc_lo
	v_mul_f64_e32 v[12:13], s[12:13], v[16:17]
	v_and_or_b32 v16, 0x1ff, v19, v18
	v_cmp_ne_u32_e32 vcc_lo, 0, v35
	v_cvt_f32_f16_e32 v17, v23
	v_and_b32_e32 v23, 7, v22
	v_lshrrev_b32_e32 v22, 2, v22
	v_lshrrev_b32_e32 v35, 8, v19
	s_wait_alu 0xfffd
	v_cndmask_b32_e64 v18, 0, 1, vcc_lo
	v_cmp_ne_u32_e32 vcc_lo, 0, v16
	v_cvt_f64_f32_e32 v[16:17], v17
	v_cmp_eq_u32_e64 s0, 3, v23
	v_mul_f16_e32 v14, v28, v14
	v_lshl_or_b32 v18, v18, 9, 0x7c00
	s_wait_alu 0xfffd
	v_cndmask_b32_e64 v33, 0, 1, vcc_lo
	v_cmp_gt_i32_e32 vcc_lo, 31, v30
	v_lshrrev_b32_e32 v28, 16, v31
	v_fma_f16 v7, v7, v39, -v14
	v_and_b32_e32 v32, 0xffff, v32
	v_and_or_b32 v33, 0xffe, v35, v33
	s_wait_alu 0xfffd
	v_cndmask_b32_e32 v6, 0x7c00, v6, vcc_lo
	v_cmp_lt_i32_e32 vcc_lo, 5, v23
	v_sub_nc_u32_e32 v35, 0x3f1, v38
	v_or_b32_e32 v40, 0x1000, v33
	s_or_b32 vcc_lo, s0, vcc_lo
	s_delay_alu instid0(VALU_DEP_2)
	v_med3_i32 v35, v35, 0, 13
	s_wait_alu 0xfffe
	v_add_co_ci_u32_e32 v41, vcc_lo, 0, v22, vcc_lo
	v_cmp_ne_u32_e32 vcc_lo, 0, v29
	v_mad_co_u64_u32 v[22:23], null, s9, 12, v[4:5]
	v_lshrrev_b32_e32 v42, v35, v40
	s_wait_alu 0xfffd
	v_cndmask_b32_e64 v29, 0, 1, vcc_lo
	v_cmp_gt_i32_e32 vcc_lo, 31, v37
	v_and_or_b32 v12, 0x1ff, v13, v12
	s_delay_alu instid0(VALU_DEP_3)
	v_lshl_or_b32 v23, v29, 9, 0x7c00
	s_wait_alu 0xfffd
	v_cndmask_b32_e32 v4, 0x7c00, v41, vcc_lo
	v_cmp_eq_u32_e32 vcc_lo, 0x40f, v30
	v_lshrrev_b32_e32 v30, 8, v13
	v_bfe_u32 v31, v13, 20, 11
	v_lshrrev_b32_e32 v13, 16, v13
	s_wait_alu 0xfffd
	v_cndmask_b32_e32 v18, v6, v18, vcc_lo
	v_lshlrev_b32_e32 v6, v35, v42
	v_cmp_eq_u32_e32 vcc_lo, 0x40f, v37
	v_add_nc_u32_e32 v35, 0xfffffc10, v38
	s_delay_alu instid0(VALU_DEP_4)
	v_and_or_b32 v18, 0x8000, v28, v18
	s_wait_alu 0xfffd
	v_cndmask_b32_e32 v14, v4, v23, vcc_lo
	v_cmp_ne_u32_e32 vcc_lo, v6, v40
	v_cvt_f32_f16_e32 v4, v7
	v_mul_f64_e32 v[6:7], s[12:13], v[16:17]
	v_lshrrev_b32_e32 v23, 16, v5
	v_lshl_or_b32 v16, v36, 16, v32
	s_wait_alu 0xfffd
	v_cndmask_b32_e64 v29, 0, 1, vcc_lo
	v_cmp_ne_u32_e32 vcc_lo, 0, v12
	v_cvt_f64_f32_e32 v[4:5], v4
	v_and_or_b32 v14, 0x8000, v23, v14
	v_and_b32_e32 v18, 0xffff, v18
	v_or_b32_e32 v29, v42, v29
	s_wait_alu 0xfffd
	v_cndmask_b32_e64 v12, 0, 1, vcc_lo
	v_cmp_gt_i32_e32 vcc_lo, 1, v35
	v_lshl_or_b32 v14, v14, 16, v18
	s_delay_alu instid0(VALU_DEP_3) | instskip(SKIP_2) | instid1(VALU_DEP_3)
	v_and_or_b32 v17, 0xffe, v30, v12
	v_sub_nc_u32_e32 v12, 0x3f1, v31
	v_lshl_or_b32 v30, v35, 12, v33
	v_or_b32_e32 v28, 0x1000, v17
	s_delay_alu instid0(VALU_DEP_3) | instskip(SKIP_3) | instid1(VALU_DEP_3)
	v_med3_i32 v32, v12, 0, 13
	v_mov_b32_e32 v12, v22
	s_wait_alu 0xfffd
	v_cndmask_b32_e32 v22, v30, v29, vcc_lo
	v_lshrrev_b32_e32 v23, v32, v28
	global_store_b32 v[11:12], v16, off
	v_and_b32_e32 v20, 7, v22
	v_add_co_u32 v11, s1, v9, s2
	v_lshlrev_b32_e32 v16, v32, v23
	v_lshrrev_b32_e32 v18, 2, v22
	s_delay_alu instid0(VALU_DEP_4)
	v_cmp_lt_i32_e32 vcc_lo, 5, v20
	v_cmp_eq_u32_e64 s0, 3, v20
	s_wait_alu 0xf1ff
	v_add_co_ci_u32_e64 v12, s1, s3, v10, s1
	v_cmp_ne_u32_e64 s1, v16, v28
	v_add_nc_u32_e32 v20, 0xfffffc10, v31
	s_or_b32 vcc_lo, s0, vcc_lo
	global_store_b32 v[11:12], v14, off
	s_wait_alu 0xfffe
	v_add_co_ci_u32_e32 v18, vcc_lo, 0, v18, vcc_lo
	v_cndmask_b32_e64 v16, 0, 1, s1
	v_cmp_gt_i32_e32 vcc_lo, 31, v35
	v_and_or_b32 v6, 0x1ff, v7, v6
	v_lshl_or_b32 v12, v20, 12, v17
	v_mul_f64_e32 v[4:5], s[12:13], v[4:5]
	v_or_b32_e32 v11, v23, v16
	s_wait_alu 0xfffd
	v_cndmask_b32_e32 v16, 0x7c00, v18, vcc_lo
	v_cmp_gt_i32_e32 vcc_lo, 1, v20
	v_lshrrev_b32_e32 v14, 16, v15
	v_bfe_u32 v22, v7, 20, 11
	v_cmp_eq_u32_e64 s1, 0x40f, v35
	s_wait_alu 0xfffd
	v_cndmask_b32_e32 v21, v12, v11, vcc_lo
	v_cmp_ne_u32_e32 vcc_lo, 0, v6
	v_mul_f16_e32 v18, v27, v14
	v_lshrrev_b32_e32 v11, 8, v7
	v_lshrrev_b32_e32 v7, 16, v7
	v_and_b32_e32 v23, 7, v21
	s_wait_alu 0xfffd
	v_cndmask_b32_e64 v6, 0, 1, vcc_lo
	v_cmp_ne_u32_e32 vcc_lo, 0, v33
	v_fmac_f16_e32 v18, v8, v15
	v_mul_f16_e32 v15, v27, v15
	v_cmp_eq_u32_e64 s0, 3, v23
	v_and_or_b32 v6, 0xffe, v11, v6
	s_wait_alu 0xfffd
	v_cndmask_b32_e64 v12, 0, 1, vcc_lo
	v_sub_nc_u32_e32 v11, 0x3f1, v22
	v_cvt_f32_f16_e32 v18, v18
	v_cmp_lt_i32_e32 vcc_lo, 5, v23
	v_or_b32_e32 v29, 0x1000, v6
	v_lshl_or_b32 v28, v12, 9, 0x7c00
	v_med3_i32 v30, v11, 0, 13
	v_cvt_f64_f32_e32 v[11:12], v18
	s_or_b32 vcc_lo, s0, vcc_lo
	v_fma_f16 v8, v8, v14, -v15
	v_cndmask_b32_e64 v23, v16, v28, s1
	v_lshrrev_b32_e32 v16, 2, v21
	v_lshrrev_b32_e32 v18, v30, v29
	v_lshrrev_b32_e32 v21, 16, v19
	v_cvt_f32_f16_e32 v8, v8
	v_add_nc_u32_e32 v22, 0xfffffc10, v22
	s_wait_alu 0xfffe
	v_add_co_ci_u32_e32 v16, vcc_lo, 0, v16, vcc_lo
	v_cmp_ne_u32_e32 vcc_lo, 0, v17
	v_lshlrev_b32_e32 v14, v30, v18
	v_and_or_b32 v4, 0x1ff, v5, v4
	v_bfe_u32 v27, v5, 20, 11
	v_and_or_b32 v21, 0x8000, v21, v23
	s_wait_alu 0xfffd
	v_cndmask_b32_e64 v17, 0, 1, vcc_lo
	v_cmp_gt_i32_e32 vcc_lo, 31, v20
	s_delay_alu instid0(VALU_DEP_2)
	v_lshl_or_b32 v17, v17, 9, 0x7c00
	s_wait_alu 0xfffd
	v_cndmask_b32_e32 v16, 0x7c00, v16, vcc_lo
	v_cmp_ne_u32_e32 vcc_lo, v14, v29
	v_cvt_f64_f32_e32 v[14:15], v8
	v_lshrrev_b32_e32 v8, 8, v5
	s_wait_alu 0xfffd
	v_cndmask_b32_e64 v19, 0, 1, vcc_lo
	v_cmp_ne_u32_e32 vcc_lo, 0, v4
	s_delay_alu instid0(VALU_DEP_2)
	v_or_b32_e32 v18, v18, v19
	s_wait_alu 0xfffd
	v_cndmask_b32_e64 v4, 0, 1, vcc_lo
	v_cmp_eq_u32_e32 vcc_lo, 0x40f, v20
	v_lshl_or_b32 v19, v22, 12, v6
	v_mul_f64_e32 v[11:12], s[12:13], v[11:12]
	s_delay_alu instid0(VALU_DEP_4)
	v_and_or_b32 v8, 0xffe, v8, v4
	s_wait_alu 0xfffd
	v_cndmask_b32_e32 v20, v16, v17, vcc_lo
	v_cmp_gt_i32_e32 vcc_lo, 1, v22
	v_sub_nc_u32_e32 v4, 0x3f1, v27
	ds_load_2addr_b32 v[16:17], v26 offset0:8 offset1:9
	v_or_b32_e32 v29, 0x1000, v8
	v_and_or_b32 v23, 0x8000, v13, v20
	s_wait_alu 0xfffd
	v_cndmask_b32_e32 v28, v19, v18, vcc_lo
	v_med3_i32 v4, v4, 0, 13
	v_mad_co_u64_u32 v[18:19], null, s8, 20, v[9:10]
	v_add_nc_u32_e32 v27, 0xfffffc10, v27
	s_delay_alu instid0(VALU_DEP_4) | instskip(NEXT) | instid1(VALU_DEP_4)
	v_and_b32_e32 v30, 7, v28
	v_lshrrev_b32_e32 v31, v4, v29
	v_lshrrev_b32_e32 v20, 2, v28
	v_and_b32_e32 v28, 0xffff, v21
	ds_load_b32 v26, v26 offset:40
	v_cmp_lt_i32_e32 vcc_lo, 5, v30
	v_cmp_eq_u32_e64 s0, 3, v30
	v_dual_mov_b32 v4, v19 :: v_dual_lshlrev_b32 v13, v4, v31
	s_delay_alu instid0(VALU_DEP_2)
	s_or_b32 vcc_lo, s0, vcc_lo
	s_wait_dscnt 0x1
	v_lshrrev_b32_e32 v30, 16, v16
	s_wait_alu 0xfffe
	v_add_co_ci_u32_e32 v21, vcc_lo, 0, v20, vcc_lo
	v_cmp_ne_u32_e32 vcc_lo, v13, v29
	v_mul_f64_e32 v[13:14], s[12:13], v[14:15]
	v_mul_f16_e32 v15, v0, v30
	v_mad_co_u64_u32 v[19:20], null, s9, 20, v[4:5]
	s_wait_alu 0xfffd
	v_cndmask_b32_e64 v29, 0, 1, vcc_lo
	v_cmp_ne_u32_e32 vcc_lo, 0, v6
	v_lshl_or_b32 v20, v27, 12, v8
	v_fmac_f16_e32 v15, v1, v16
	v_mul_f16_e32 v0, v0, v16
	v_or_b32_e32 v4, v31, v29
	s_wait_alu 0xfffd
	v_cndmask_b32_e64 v6, 0, 1, vcc_lo
	v_cmp_gt_i32_e32 vcc_lo, 1, v27
	v_cvt_f32_f16_e32 v15, v15
	v_and_or_b32 v11, 0x1ff, v12, v11
	v_fma_f16 v0, v1, v30, -v0
	v_lshl_or_b32 v6, v6, 9, 0x7c00
	s_wait_alu 0xfffd
	v_cndmask_b32_e32 v4, v20, v4, vcc_lo
	v_cmp_gt_i32_e32 vcc_lo, 31, v22
	v_cmp_ne_u32_e64 s0, 0, v11
	v_cvt_f32_f16_e32 v0, v0
	v_lshrrev_b32_e32 v5, 16, v5
	v_and_b32_e32 v31, 7, v4
	s_wait_alu 0xfffd
	v_cndmask_b32_e32 v29, 0x7c00, v21, vcc_lo
	v_cvt_f64_f32_e32 v[20:21], v15
	v_cmp_eq_u32_e32 vcc_lo, 0x40f, v22
	v_lshl_or_b32 v22, v23, 16, v28
	s_wait_alu 0xf1ff
	v_cndmask_b32_e64 v11, 0, 1, s0
	v_lshrrev_b32_e32 v15, 8, v12
	v_bfe_u32 v23, v12, 20, 11
	s_wait_alu 0xfffd
	v_cndmask_b32_e32 v6, v29, v6, vcc_lo
	v_cmp_lt_i32_e32 vcc_lo, 5, v31
	v_cmp_eq_u32_e64 s0, 3, v31
	v_lshrrev_b32_e32 v4, 2, v4
	v_and_or_b32 v11, 0xffe, v15, v11
	v_and_or_b32 v28, 0x8000, v7, v6
	v_sub_nc_u32_e32 v6, 0x3f1, v23
	s_or_b32 vcc_lo, s0, vcc_lo
	global_store_b32 v[18:19], v22, off
	s_wait_alu 0xfffe
	v_add_co_ci_u32_e32 v4, vcc_lo, 0, v4, vcc_lo
	v_cmp_ne_u32_e32 vcc_lo, 0, v8
	v_or_b32_e32 v29, 0x1000, v11
	v_med3_i32 v6, v6, 0, 13
	v_and_or_b32 v7, 0x1ff, v14, v13
	v_lshrrev_b32_e32 v15, 8, v14
	s_wait_alu 0xfffd
	v_cndmask_b32_e64 v1, 0, 1, vcc_lo
	v_cmp_gt_i32_e32 vcc_lo, 31, v27
	v_lshrrev_b32_e32 v8, v6, v29
	v_bfe_u32 v30, v14, 20, 11
	s_delay_alu instid0(VALU_DEP_4)
	v_lshl_or_b32 v1, v1, 9, 0x7c00
	s_wait_alu 0xfffd
	v_cndmask_b32_e32 v4, 0x7c00, v4, vcc_lo
	v_cmp_ne_u32_e32 vcc_lo, 0, v7
	v_lshlrev_b32_e32 v31, v6, v8
	v_cvt_f64_f32_e32 v[6:7], v0
	v_sub_nc_u32_e32 v0, 0x3f1, v30
	s_wait_alu 0xfffd
	v_cndmask_b32_e64 v13, 0, 1, vcc_lo
	v_cmp_ne_u32_e32 vcc_lo, v31, v29
	s_delay_alu instid0(VALU_DEP_3) | instskip(NEXT) | instid1(VALU_DEP_3)
	v_med3_i32 v29, v0, 0, 13
	v_and_or_b32 v13, 0xffe, v15, v13
	v_mul_f64_e32 v[15:16], s[12:13], v[20:21]
	s_wait_alu 0xfffd
	v_cndmask_b32_e64 v20, 0, 1, vcc_lo
	v_cmp_eq_u32_e32 vcc_lo, 0x40f, v27
	v_add_nc_u32_e32 v21, 0xfffffc10, v23
	v_or_b32_e32 v23, 0x1000, v13
	s_delay_alu instid0(VALU_DEP_4)
	v_or_b32_e32 v8, v8, v20
	s_wait_alu 0xfffd
	v_cndmask_b32_e32 v4, v4, v1, vcc_lo
	v_lshl_or_b32 v20, v21, 12, v11
	v_lshrrev_b32_e32 v27, v29, v23
	v_cmp_gt_i32_e32 vcc_lo, 1, v21
	v_mad_co_u64_u32 v[0:1], null, s8, 24, v[9:10]
	v_and_or_b32 v4, 0x8000, v5, v4
	v_and_b32_e32 v5, 0xffff, v28
	v_lshrrev_b32_e32 v28, 16, v17
	s_wait_alu 0xfffd
	v_cndmask_b32_e32 v8, v20, v8, vcc_lo
	v_lshlrev_b32_e32 v20, v29, v27
	v_cmp_eq_u32_e64 s1, 0x40f, v21
	v_lshl_or_b32 v4, v4, 16, v5
	v_mul_f16_e32 v5, v25, v28
	v_and_b32_e32 v29, 7, v8
	v_cmp_ne_u32_e64 s0, v20, v23
	v_lshrrev_b32_e32 v8, 2, v8
	v_add_nc_u32_e32 v20, 0xfffffc10, v30
	v_fmac_f16_e32 v5, v2, v17
	v_cmp_lt_i32_e32 vcc_lo, 5, v29
	s_wait_alu 0xf1ff
	v_cndmask_b32_e64 v18, 0, 1, s0
	v_cmp_eq_u32_e64 s0, 3, v29
	v_lshl_or_b32 v19, v20, 12, v13
	v_cvt_f32_f16_e32 v22, v5
	v_mul_f64_e32 v[5:6], s[12:13], v[6:7]
	v_or_b32_e32 v18, v27, v18
	s_or_b32 vcc_lo, s0, vcc_lo
	v_mul_f16_e32 v17, v25, v17
	s_wait_alu 0xfffe
	v_add_co_ci_u32_e32 v23, vcc_lo, 0, v8, vcc_lo
	v_cvt_f64_f32_e32 v[7:8], v22
	v_cmp_gt_i32_e32 vcc_lo, 1, v20
	v_and_or_b32 v15, 0x1ff, v16, v15
	v_bfe_u32 v22, v16, 20, 11
	s_wait_alu 0xfffd
	v_cndmask_b32_e32 v27, v19, v18, vcc_lo
	v_cmp_ne_u32_e32 vcc_lo, 0, v11
	v_mad_co_u64_u32 v[18:19], null, s9, 24, v[1:2]
	v_lshrrev_b32_e32 v19, 8, v16
	s_delay_alu instid0(VALU_DEP_4)
	v_and_b32_e32 v11, 7, v27
	s_wait_alu 0xfffd
	v_cndmask_b32_e64 v1, 0, 1, vcc_lo
	v_cmp_ne_u32_e32 vcc_lo, 0, v15
	v_fma_f16 v2, v2, v28, -v17
	v_cmp_eq_u32_e64 s0, 3, v11
	s_delay_alu instid0(VALU_DEP_4) | instskip(SKIP_4) | instid1(VALU_DEP_3)
	v_lshl_or_b32 v1, v1, 9, 0x7c00
	s_wait_alu 0xfffd
	v_cndmask_b32_e64 v15, 0, 1, vcc_lo
	v_cmp_gt_i32_e32 vcc_lo, 31, v21
	v_cvt_f32_f16_e32 v2, v2
	v_and_or_b32 v19, 0xffe, v19, v15
	v_sub_nc_u32_e32 v15, 0x3f1, v22
	s_wait_alu 0xfffd
	v_cndmask_b32_e32 v23, 0x7c00, v23, vcc_lo
	v_cmp_lt_i32_e32 vcc_lo, 5, v11
	v_lshrrev_b32_e32 v11, 2, v27
	v_or_b32_e32 v21, 0x1000, v19
	v_med3_i32 v15, v15, 0, 13
	v_cndmask_b32_e64 v1, v23, v1, s1
	s_or_b32 vcc_lo, s0, vcc_lo
	v_lshrrev_b32_e32 v23, 16, v12
	s_wait_alu 0xfffe
	v_add_co_ci_u32_e32 v11, vcc_lo, 0, v11, vcc_lo
	v_lshrrev_b32_e32 v17, v15, v21
	v_cmp_ne_u32_e32 vcc_lo, 0, v13
	v_and_or_b32 v5, 0x1ff, v6, v5
	v_mul_f64_e32 v[7:8], s[12:13], v[7:8]
	v_and_or_b32 v23, 0x8000, v23, v1
	v_lshlrev_b32_e32 v15, v15, v17
	s_wait_alu 0xfffd
	v_cndmask_b32_e64 v13, 0, 1, vcc_lo
	v_cmp_gt_i32_e32 vcc_lo, 31, v20
	s_wait_dscnt 0x0
	v_lshrrev_b32_e32 v27, 16, v26
	v_and_b32_e32 v23, 0xffff, v23
	s_wait_alu 0xfffd
	v_cndmask_b32_e32 v25, 0x7c00, v11, vcc_lo
	v_cmp_ne_u32_e32 vcc_lo, v15, v21
	v_cvt_f64_f32_e32 v[11:12], v2
	v_lshl_or_b32 v2, v13, 9, 0x7c00
	v_lshrrev_b32_e32 v13, 8, v6
	v_bfe_u32 v15, v6, 20, 11
	s_wait_alu 0xfffd
	v_cndmask_b32_e64 v1, 0, 1, vcc_lo
	v_cmp_ne_u32_e32 vcc_lo, 0, v5
	v_add_nc_u32_e32 v21, 0xfffffc10, v22
	v_lshrrev_b32_e32 v6, 16, v6
	v_sub_nc_u32_e32 v22, 0x3f1, v15
	v_or_b32_e32 v1, v17, v1
	s_wait_alu 0xfffd
	v_cndmask_b32_e64 v5, 0, 1, vcc_lo
	v_cmp_eq_u32_e32 vcc_lo, 0x40f, v20
	v_lshl_or_b32 v17, v21, 12, v19
	v_med3_i32 v22, v22, 0, 13
	v_lshrrev_b32_e32 v20, 16, v14
	v_and_or_b32 v5, 0xffe, v13, v5
	s_wait_alu 0xfffd
	v_cndmask_b32_e32 v2, v25, v2, vcc_lo
	v_cmp_gt_i32_e32 vcc_lo, 1, v21
	v_mad_co_u64_u32 v[13:14], null, s8, 28, v[9:10]
	v_or_b32_e32 v25, 0x1000, v5
	s_delay_alu instid0(VALU_DEP_4)
	v_and_or_b32 v20, 0x8000, v20, v2
	s_wait_alu 0xfffd
	v_cndmask_b32_e32 v17, v17, v1, vcc_lo
	v_mov_b32_e32 v1, v18
	v_mul_f16_e32 v18, v24, v27
	v_lshrrev_b32_e32 v29, v22, v25
	v_mov_b32_e32 v2, v14
	v_and_or_b32 v7, 0x1ff, v8, v7
	v_and_b32_e32 v28, 7, v17
	v_fmac_f16_e32 v18, v3, v26
	v_lshlrev_b32_e32 v14, v22, v29
	v_mul_f16_e32 v22, v24, v26
	v_lshrrev_b32_e32 v17, 2, v17
	v_cmp_lt_i32_e32 vcc_lo, 5, v28
	v_cvt_f32_f16_e32 v18, v18
	v_cmp_ne_u32_e64 s1, v14, v25
	v_fma_f16 v3, v3, v27, -v22
	v_add_nc_u32_e32 v22, 0xfffffc10, v15
	v_mul_f64_e32 v[11:12], s[12:13], v[11:12]
	v_cvt_f64_f32_e32 v[14:15], v18
	s_wait_alu 0xf1ff
	v_cndmask_b32_e64 v24, 0, 1, s1
	v_cmp_ne_u32_e64 s1, 0, v7
	v_cmp_eq_u32_e64 s0, 3, v28
	v_cvt_f32_f16_e32 v3, v3
	v_lshrrev_b32_e32 v25, 8, v8
	v_or_b32_e32 v18, v29, v24
	v_lshl_or_b32 v24, v22, 12, v5
	s_wait_alu 0xf1ff
	v_cndmask_b32_e64 v7, 0, 1, s1
	v_cmp_gt_i32_e64 s1, 1, v22
	s_or_b32 vcc_lo, s0, vcc_lo
	v_bfe_u32 v26, v8, 20, 11
	s_wait_alu 0xfffe
	v_add_co_ci_u32_e32 v27, vcc_lo, 0, v17, vcc_lo
	v_cndmask_b32_e64 v24, v24, v18, s1
	v_cvt_f64_f32_e32 v[17:18], v3
	v_and_or_b32 v7, 0xffe, v25, v7
	v_cmp_ne_u32_e32 vcc_lo, 0, v19
	v_sub_nc_u32_e32 v3, 0x3f1, v26
	v_and_b32_e32 v25, 7, v24
	v_lshrrev_b32_e32 v24, 2, v24
	v_or_b32_e32 v28, 0x1000, v7
	s_wait_alu 0xfffd
	v_cndmask_b32_e64 v19, 0, 1, vcc_lo
	v_med3_i32 v3, v3, 0, 13
	v_cmp_lt_i32_e32 vcc_lo, 5, v25
	v_cmp_eq_u32_e64 s0, 3, v25
	v_cmp_gt_i32_e64 s1, 31, v21
	v_lshl_or_b32 v19, v19, 9, 0x7c00
	v_lshl_or_b32 v20, v20, 16, v23
	v_lshrrev_b32_e32 v8, 16, v8
	s_or_b32 vcc_lo, s0, vcc_lo
	v_cndmask_b32_e64 v25, 0x7c00, v27, s1
	s_wait_alu 0xfffe
	v_add_co_ci_u32_e32 v24, vcc_lo, 0, v24, vcc_lo
	v_lshrrev_b32_e32 v27, v3, v28
	v_cmp_eq_u32_e32 vcc_lo, 0x40f, v21
	v_lshrrev_b32_e32 v21, 16, v16
	v_and_or_b32 v11, 0x1ff, v12, v11
	v_mul_f64_e32 v[15:16], s[12:13], v[14:15]
	v_lshlrev_b32_e32 v3, v3, v27
	s_wait_alu 0xfffd
	v_cndmask_b32_e32 v19, v25, v19, vcc_lo
	v_cmp_gt_i32_e32 vcc_lo, 31, v22
	v_add_nc_u32_e32 v25, 0xfffffc10, v26
	v_bfe_u32 v26, v12, 20, 11
	v_lshrrev_b32_e32 v14, 8, v12
	s_wait_alu 0xfffd
	v_cndmask_b32_e32 v24, 0x7c00, v24, vcc_lo
	v_cmp_ne_u32_e32 vcc_lo, v3, v28
	s_wait_alu 0xfffd
	v_cndmask_b32_e64 v3, 0, 1, vcc_lo
	v_cmp_ne_u32_e32 vcc_lo, 0, v11
	v_mul_f64_e32 v[17:18], s[12:13], v[17:18]
	s_delay_alu instid0(VALU_DEP_3) | instskip(SKIP_4) | instid1(VALU_DEP_3)
	v_or_b32_e32 v27, v27, v3
	s_wait_alu 0xfffd
	v_cndmask_b32_e64 v11, 0, 1, vcc_lo
	v_cmp_ne_u32_e32 vcc_lo, 0, v5
	v_sub_nc_u32_e32 v3, 0x3f1, v26
	v_and_or_b32 v11, 0xffe, v14, v11
	s_wait_alu 0xfffd
	v_cndmask_b32_e64 v5, 0, 1, vcc_lo
	v_lshl_or_b32 v14, v25, 12, v7
	v_cmp_gt_i32_e32 vcc_lo, 1, v25
	v_med3_i32 v29, v3, 0, 13
	v_mad_co_u64_u32 v[2:3], null, s9, 28, v[2:3]
	v_lshl_or_b32 v5, v5, 9, 0x7c00
	s_wait_alu 0xfffd
	v_cndmask_b32_e32 v3, v14, v27, vcc_lo
	v_or_b32_e32 v28, 0x1000, v11
	v_cmp_eq_u32_e32 vcc_lo, 0x40f, v22
	v_and_or_b32 v14, 0x8000, v21, v19
	s_delay_alu instid0(VALU_DEP_4) | instskip(NEXT) | instid1(VALU_DEP_4)
	v_and_b32_e32 v19, 7, v3
	v_lshrrev_b32_e32 v22, v29, v28
	s_wait_alu 0xfffd
	v_cndmask_b32_e32 v5, v24, v5, vcc_lo
	v_dual_mov_b32 v14, v2 :: v_dual_and_b32 v21, 0xffff, v14
	v_cmp_lt_i32_e32 vcc_lo, 5, v19
	v_cmp_eq_u32_e64 s0, 3, v19
	v_lshrrev_b32_e32 v2, 2, v3
	v_and_or_b32 v5, 0x8000, v6, v5
	v_lshlrev_b32_e32 v6, v29, v22
	s_delay_alu instid0(VALU_DEP_4)
	s_or_b32 vcc_lo, s0, vcc_lo
	s_wait_alu 0xfffe
	v_add_co_ci_u32_e32 v2, vcc_lo, 0, v2, vcc_lo
	v_lshl_or_b32 v19, v5, 16, v21
	v_cmp_ne_u32_e64 s1, v6, v28
	v_and_or_b32 v5, 0x1ff, v16, v15
	v_cmp_ne_u32_e32 vcc_lo, 0, v7
	v_add_nc_u32_e32 v6, 0xfffffc10, v26
	v_lshrrev_b32_e32 v21, 8, v16
	s_wait_alu 0xf1ff
	v_cndmask_b32_e64 v3, 0, 1, s1
	v_and_or_b32 v17, 0x1ff, v18, v17
	s_wait_alu 0xfffd
	v_cndmask_b32_e64 v7, 0, 1, vcc_lo
	v_cmp_ne_u32_e32 vcc_lo, 0, v5
	v_lshl_or_b32 v15, v6, 12, v11
	v_or_b32_e32 v3, v22, v3
	v_bfe_u32 v22, v16, 20, 11
	v_bfe_u32 v23, v18, 20, 11
	s_wait_alu 0xfffd
	v_cndmask_b32_e64 v5, 0, 1, vcc_lo
	v_cmp_gt_i32_e32 vcc_lo, 1, v6
	v_lshl_or_b32 v7, v7, 9, 0x7c00
	v_lshrrev_b32_e32 v16, 16, v16
	s_delay_alu instid0(VALU_DEP_4)
	v_and_or_b32 v5, 0xffe, v21, v5
	s_wait_alu 0xfffd
	v_cndmask_b32_e32 v3, v15, v3, vcc_lo
	v_sub_nc_u32_e32 v15, 0x3f1, v22
	v_cmp_ne_u32_e32 vcc_lo, 0, v17
	v_lshrrev_b32_e32 v21, 8, v18
	v_or_b32_e32 v26, 0x1000, v5
	v_and_b32_e32 v24, 7, v3
	v_med3_i32 v15, v15, 0, 13
	s_wait_alu 0xfffd
	v_cndmask_b32_e64 v17, 0, 1, vcc_lo
	v_cmp_gt_i32_e32 vcc_lo, 31, v25
	v_lshrrev_b32_e32 v3, 2, v3
	v_cmp_eq_u32_e64 s0, 3, v24
	v_lshrrev_b32_e32 v28, v15, v26
	v_and_or_b32 v17, 0xffe, v21, v17
	s_wait_alu 0xfffd
	v_cndmask_b32_e32 v2, 0x7c00, v2, vcc_lo
	v_cmp_lt_i32_e32 vcc_lo, 5, v24
	v_sub_nc_u32_e32 v21, 0x3f1, v23
	v_lshlrev_b32_e32 v15, v15, v28
	v_or_b32_e32 v27, 0x1000, v17
	v_add_nc_u32_e32 v22, 0xfffffc10, v22
	s_or_b32 vcc_lo, s0, vcc_lo
	v_med3_i32 v21, v21, 0, 13
	s_wait_alu 0xfffe
	v_add_co_ci_u32_e32 v3, vcc_lo, 0, v3, vcc_lo
	v_cmp_ne_u32_e32 vcc_lo, v15, v26
	v_lshl_or_b32 v26, v22, 12, v5
	v_lshrrev_b32_e32 v24, v21, v27
	v_add_nc_u32_e32 v23, 0xfffffc10, v23
	v_lshrrev_b32_e32 v18, 16, v18
	s_wait_alu 0xfffd
	v_cndmask_b32_e64 v15, 0, 1, vcc_lo
	v_cmp_gt_i32_e32 vcc_lo, 31, v6
	v_lshlrev_b32_e32 v21, v21, v24
	s_delay_alu instid0(VALU_DEP_3)
	v_or_b32_e32 v15, v28, v15
	s_wait_alu 0xfffd
	v_cndmask_b32_e32 v3, 0x7c00, v3, vcc_lo
	v_cmp_ne_u32_e32 vcc_lo, 0, v11
	s_wait_alu 0xfffd
	v_cndmask_b32_e64 v11, 0, 1, vcc_lo
	v_cmp_ne_u32_e32 vcc_lo, v21, v27
	s_delay_alu instid0(VALU_DEP_2) | instskip(SKIP_3) | instid1(VALU_DEP_2)
	v_lshl_or_b32 v11, v11, 9, 0x7c00
	s_wait_alu 0xfffd
	v_cndmask_b32_e64 v21, 0, 1, vcc_lo
	v_cmp_eq_u32_e32 vcc_lo, 0x40f, v25
	v_or_b32_e32 v21, v24, v21
	s_wait_alu 0xfffd
	v_cndmask_b32_e32 v2, v2, v7, vcc_lo
	v_cmp_gt_i32_e32 vcc_lo, 1, v22
	v_lshl_or_b32 v24, v23, 12, v17
	s_delay_alu instid0(VALU_DEP_3)
	v_and_or_b32 v8, 0x8000, v8, v2
	s_wait_alu 0xfffd
	v_cndmask_b32_e32 v7, v26, v15, vcc_lo
	v_cmp_eq_u32_e32 vcc_lo, 0x40f, v6
	s_wait_alu 0xfffd
	v_cndmask_b32_e32 v3, v3, v11, vcc_lo
	v_cmp_gt_i32_e32 vcc_lo, 1, v23
	v_lshrrev_b32_e32 v11, 16, v12
	v_and_b32_e32 v12, 7, v7
	s_wait_alu 0xfffd
	v_cndmask_b32_e32 v6, v24, v21, vcc_lo
	s_delay_alu instid0(VALU_DEP_3) | instskip(NEXT) | instid1(VALU_DEP_3)
	v_and_or_b32 v15, 0x8000, v11, v3
	v_cmp_lt_i32_e32 vcc_lo, 5, v12
	v_cmp_eq_u32_e64 s0, 3, v12
	v_lshrrev_b32_e32 v3, 2, v7
	v_and_b32_e32 v2, 7, v6
	s_delay_alu instid0(VALU_DEP_3) | instskip(NEXT) | instid1(VALU_DEP_1)
	s_or_b32 vcc_lo, s0, vcc_lo
	v_cmp_lt_i32_e64 s1, 5, v2
	v_cmp_eq_u32_e64 s2, 3, v2
	v_lshrrev_b32_e32 v2, 2, v6
	s_wait_alu 0xfffe
	v_add_co_ci_u32_e32 v6, vcc_lo, 0, v3, vcc_lo
	v_cmp_ne_u32_e32 vcc_lo, 0, v5
	s_wait_alu 0xfffd
	v_cndmask_b32_e64 v5, 0, 1, vcc_lo
	s_or_b32 vcc_lo, s2, s1
	s_wait_alu 0xfffe
	v_add_co_ci_u32_e32 v7, vcc_lo, 0, v2, vcc_lo
	v_cmp_ne_u32_e32 vcc_lo, 0, v17
	v_lshl_or_b32 v17, v5, 9, 0x7c00
	v_mad_co_u64_u32 v[2:3], null, s8, 36, v[9:10]
	s_wait_alu 0xfffd
	v_cndmask_b32_e64 v11, 0, 1, vcc_lo
	v_cmp_gt_i32_e32 vcc_lo, 31, v22
	s_delay_alu instid0(VALU_DEP_2)
	v_lshl_or_b32 v11, v11, 9, 0x7c00
	s_wait_alu 0xfffd
	v_cndmask_b32_e32 v12, 0x7c00, v6, vcc_lo
	v_cmp_gt_i32_e32 vcc_lo, 31, v23
	v_mad_co_u64_u32 v[5:6], null, s8, 40, v[9:10]
	s_wait_alu 0xfffd
	v_cndmask_b32_e32 v7, 0x7c00, v7, vcc_lo
	v_cmp_eq_u32_e32 vcc_lo, 0x40f, v22
	s_wait_alu 0xfffd
	v_dual_cndmask_b32 v12, v12, v17 :: v_dual_and_b32 v17, 0xffff, v8
	v_cmp_eq_u32_e32 vcc_lo, 0x40f, v23
	s_delay_alu instid0(VALU_DEP_2) | instskip(SKIP_4) | instid1(VALU_DEP_3)
	v_and_or_b32 v12, 0x8000, v16, v12
	s_wait_alu 0xfffd
	v_cndmask_b32_e32 v11, v7, v11, vcc_lo
	v_mad_co_u64_u32 v[7:8], null, s9, 36, v[3:4]
	v_add_co_u32 v8, vcc_lo, v9, s4
	v_and_or_b32 v16, 0x8000, v18, v11
	v_and_b32_e32 v18, 0xffff, v12
	s_wait_alu 0xfffd
	v_add_co_ci_u32_e32 v9, vcc_lo, s5, v10, vcc_lo
	v_mad_co_u64_u32 v[11:12], null, s9, 40, v[6:7]
	v_lshl_or_b32 v10, v15, 16, v17
	v_mov_b32_e32 v3, v7
	v_lshl_or_b32 v7, v16, 16, v18
	s_delay_alu instid0(VALU_DEP_4)
	v_mov_b32_e32 v6, v11
	s_clause 0x4
	global_store_b32 v[0:1], v4, off
	global_store_b32 v[13:14], v20, off
	;; [unrolled: 1-line block ×5, first 2 shown]
.LBB0_2:
	s_nop 0
	s_sendmsg sendmsg(MSG_DEALLOC_VGPRS)
	s_endpgm
	.section	.rodata,"a",@progbits
	.p2align	6, 0x0
	.amdhsa_kernel bluestein_single_back_len11_dim1_half_op_CI_CI
		.amdhsa_group_segment_fixed_size 5632
		.amdhsa_private_segment_fixed_size 0
		.amdhsa_kernarg_size 104
		.amdhsa_user_sgpr_count 2
		.amdhsa_user_sgpr_dispatch_ptr 0
		.amdhsa_user_sgpr_queue_ptr 0
		.amdhsa_user_sgpr_kernarg_segment_ptr 1
		.amdhsa_user_sgpr_dispatch_id 0
		.amdhsa_user_sgpr_private_segment_size 0
		.amdhsa_wavefront_size32 1
		.amdhsa_uses_dynamic_stack 0
		.amdhsa_enable_private_segment 0
		.amdhsa_system_sgpr_workgroup_id_x 1
		.amdhsa_system_sgpr_workgroup_id_y 0
		.amdhsa_system_sgpr_workgroup_id_z 0
		.amdhsa_system_sgpr_workgroup_info 0
		.amdhsa_system_vgpr_workitem_id 0
		.amdhsa_next_free_vgpr 138
		.amdhsa_next_free_sgpr 16
		.amdhsa_reserve_vcc 1
		.amdhsa_float_round_mode_32 0
		.amdhsa_float_round_mode_16_64 0
		.amdhsa_float_denorm_mode_32 3
		.amdhsa_float_denorm_mode_16_64 3
		.amdhsa_fp16_overflow 0
		.amdhsa_workgroup_processor_mode 1
		.amdhsa_memory_ordered 1
		.amdhsa_forward_progress 0
		.amdhsa_round_robin_scheduling 0
		.amdhsa_exception_fp_ieee_invalid_op 0
		.amdhsa_exception_fp_denorm_src 0
		.amdhsa_exception_fp_ieee_div_zero 0
		.amdhsa_exception_fp_ieee_overflow 0
		.amdhsa_exception_fp_ieee_underflow 0
		.amdhsa_exception_fp_ieee_inexact 0
		.amdhsa_exception_int_div_zero 0
	.end_amdhsa_kernel
	.text
.Lfunc_end0:
	.size	bluestein_single_back_len11_dim1_half_op_CI_CI, .Lfunc_end0-bluestein_single_back_len11_dim1_half_op_CI_CI
                                        ; -- End function
	.section	.AMDGPU.csdata,"",@progbits
; Kernel info:
; codeLenInByte = 13308
; NumSgprs: 18
; NumVgprs: 138
; ScratchSize: 0
; MemoryBound: 0
; FloatMode: 240
; IeeeMode: 1
; LDSByteSize: 5632 bytes/workgroup (compile time only)
; SGPRBlocks: 2
; VGPRBlocks: 17
; NumSGPRsForWavesPerEU: 18
; NumVGPRsForWavesPerEU: 138
; Occupancy: 10
; WaveLimiterHint : 1
; COMPUTE_PGM_RSRC2:SCRATCH_EN: 0
; COMPUTE_PGM_RSRC2:USER_SGPR: 2
; COMPUTE_PGM_RSRC2:TRAP_HANDLER: 0
; COMPUTE_PGM_RSRC2:TGID_X_EN: 1
; COMPUTE_PGM_RSRC2:TGID_Y_EN: 0
; COMPUTE_PGM_RSRC2:TGID_Z_EN: 0
; COMPUTE_PGM_RSRC2:TIDIG_COMP_CNT: 0
	.text
	.p2alignl 7, 3214868480
	.fill 96, 4, 3214868480
	.type	__hip_cuid_74912968c77a629d,@object ; @__hip_cuid_74912968c77a629d
	.section	.bss,"aw",@nobits
	.globl	__hip_cuid_74912968c77a629d
__hip_cuid_74912968c77a629d:
	.byte	0                               ; 0x0
	.size	__hip_cuid_74912968c77a629d, 1

	.ident	"AMD clang version 19.0.0git (https://github.com/RadeonOpenCompute/llvm-project roc-6.4.0 25133 c7fe45cf4b819c5991fe208aaa96edf142730f1d)"
	.section	".note.GNU-stack","",@progbits
	.addrsig
	.addrsig_sym __hip_cuid_74912968c77a629d
	.amdgpu_metadata
---
amdhsa.kernels:
  - .args:
      - .actual_access:  read_only
        .address_space:  global
        .offset:         0
        .size:           8
        .value_kind:     global_buffer
      - .actual_access:  read_only
        .address_space:  global
        .offset:         8
        .size:           8
        .value_kind:     global_buffer
      - .actual_access:  read_only
        .address_space:  global
        .offset:         16
        .size:           8
        .value_kind:     global_buffer
      - .actual_access:  read_only
        .address_space:  global
        .offset:         24
        .size:           8
        .value_kind:     global_buffer
      - .actual_access:  read_only
        .address_space:  global
        .offset:         32
        .size:           8
        .value_kind:     global_buffer
      - .offset:         40
        .size:           8
        .value_kind:     by_value
      - .address_space:  global
        .offset:         48
        .size:           8
        .value_kind:     global_buffer
      - .address_space:  global
        .offset:         56
        .size:           8
        .value_kind:     global_buffer
      - .address_space:  global
        .offset:         64
        .size:           8
        .value_kind:     global_buffer
      - .address_space:  global
        .offset:         72
        .size:           8
        .value_kind:     global_buffer
      - .offset:         80
        .size:           4
        .value_kind:     by_value
      - .address_space:  global
        .offset:         88
        .size:           8
        .value_kind:     global_buffer
      - .address_space:  global
        .offset:         96
        .size:           8
        .value_kind:     global_buffer
    .group_segment_fixed_size: 5632
    .kernarg_segment_align: 8
    .kernarg_segment_size: 104
    .language:       OpenCL C
    .language_version:
      - 2
      - 0
    .max_flat_workgroup_size: 128
    .name:           bluestein_single_back_len11_dim1_half_op_CI_CI
    .private_segment_fixed_size: 0
    .sgpr_count:     18
    .sgpr_spill_count: 0
    .symbol:         bluestein_single_back_len11_dim1_half_op_CI_CI.kd
    .uniform_work_group_size: 1
    .uses_dynamic_stack: false
    .vgpr_count:     138
    .vgpr_spill_count: 0
    .wavefront_size: 32
    .workgroup_processor_mode: 1
amdhsa.target:   amdgcn-amd-amdhsa--gfx1201
amdhsa.version:
  - 1
  - 2
...

	.end_amdgpu_metadata
